;; amdgpu-corpus repo=ROCm/rocFFT kind=compiled arch=gfx950 opt=O3
	.text
	.amdgcn_target "amdgcn-amd-amdhsa--gfx950"
	.amdhsa_code_object_version 6
	.protected	fft_rtc_back_len1680_factors_2_2_2_2_3_7_5_wgs_112_tpt_112_halfLds_sp_ip_CI_unitstride_sbrr_dirReg ; -- Begin function fft_rtc_back_len1680_factors_2_2_2_2_3_7_5_wgs_112_tpt_112_halfLds_sp_ip_CI_unitstride_sbrr_dirReg
	.globl	fft_rtc_back_len1680_factors_2_2_2_2_3_7_5_wgs_112_tpt_112_halfLds_sp_ip_CI_unitstride_sbrr_dirReg
	.p2align	8
	.type	fft_rtc_back_len1680_factors_2_2_2_2_3_7_5_wgs_112_tpt_112_halfLds_sp_ip_CI_unitstride_sbrr_dirReg,@function
fft_rtc_back_len1680_factors_2_2_2_2_3_7_5_wgs_112_tpt_112_halfLds_sp_ip_CI_unitstride_sbrr_dirReg: ; @fft_rtc_back_len1680_factors_2_2_2_2_3_7_5_wgs_112_tpt_112_halfLds_sp_ip_CI_unitstride_sbrr_dirReg
; %bb.0:
	s_load_dwordx2 s[8:9], s[0:1], 0x50
	s_load_dwordx4 s[4:7], s[0:1], 0x0
	s_load_dwordx2 s[10:11], s[0:1], 0x18
	v_mul_u32_u24_e32 v1, 0x24a, v0
	v_add_u32_sdwa v6, s2, v1 dst_sel:DWORD dst_unused:UNUSED_PAD src0_sel:DWORD src1_sel:WORD_1
	v_mov_b32_e32 v4, 0
	s_waitcnt lgkmcnt(0)
	v_cmp_lt_u64_e64 s[2:3], s[6:7], 2
	v_mov_b32_e32 v7, v4
	s_and_b64 vcc, exec, s[2:3]
	v_mov_b64_e32 v[2:3], 0
	s_cbranch_vccnz .LBB0_8
; %bb.1:
	s_load_dwordx2 s[2:3], s[0:1], 0x10
	s_add_u32 s12, s10, 8
	s_addc_u32 s13, s11, 0
	s_mov_b64 s[14:15], 1
	v_mov_b64_e32 v[2:3], 0
	s_waitcnt lgkmcnt(0)
	s_add_u32 s16, s2, 8
	s_addc_u32 s17, s3, 0
.LBB0_2:                                ; =>This Inner Loop Header: Depth=1
	s_load_dwordx2 s[18:19], s[16:17], 0x0
                                        ; implicit-def: $vgpr8_vgpr9
	s_waitcnt lgkmcnt(0)
	v_or_b32_e32 v5, s19, v7
	v_cmp_ne_u64_e32 vcc, 0, v[4:5]
	s_and_saveexec_b64 s[2:3], vcc
	s_xor_b64 s[20:21], exec, s[2:3]
	s_cbranch_execz .LBB0_4
; %bb.3:                                ;   in Loop: Header=BB0_2 Depth=1
	v_cvt_f32_u32_e32 v1, s18
	v_cvt_f32_u32_e32 v5, s19
	s_sub_u32 s2, 0, s18
	s_subb_u32 s3, 0, s19
	v_fmac_f32_e32 v1, 0x4f800000, v5
	v_rcp_f32_e32 v1, v1
	s_nop 0
	v_mul_f32_e32 v1, 0x5f7ffffc, v1
	v_mul_f32_e32 v5, 0x2f800000, v1
	v_trunc_f32_e32 v5, v5
	v_fmac_f32_e32 v1, 0xcf800000, v5
	v_cvt_u32_f32_e32 v5, v5
	v_cvt_u32_f32_e32 v1, v1
	v_mul_lo_u32 v8, s2, v5
	v_mul_hi_u32 v10, s2, v1
	v_mul_lo_u32 v9, s3, v1
	v_add_u32_e32 v10, v10, v8
	v_mul_lo_u32 v12, s2, v1
	v_add_u32_e32 v13, v10, v9
	v_mul_hi_u32 v8, v1, v12
	v_mul_hi_u32 v11, v1, v13
	v_mul_lo_u32 v10, v1, v13
	v_mov_b32_e32 v9, v4
	v_lshl_add_u64 v[8:9], v[8:9], 0, v[10:11]
	v_mul_hi_u32 v11, v5, v12
	v_mul_lo_u32 v12, v5, v12
	v_add_co_u32_e32 v8, vcc, v8, v12
	v_mul_hi_u32 v10, v5, v13
	s_nop 0
	v_addc_co_u32_e32 v8, vcc, v9, v11, vcc
	v_mov_b32_e32 v9, v4
	s_nop 0
	v_addc_co_u32_e32 v11, vcc, 0, v10, vcc
	v_mul_lo_u32 v10, v5, v13
	v_lshl_add_u64 v[8:9], v[8:9], 0, v[10:11]
	v_add_co_u32_e32 v1, vcc, v1, v8
	v_mul_lo_u32 v10, s2, v1
	s_nop 0
	v_addc_co_u32_e32 v5, vcc, v5, v9, vcc
	v_mul_lo_u32 v8, s2, v5
	v_mul_hi_u32 v9, s2, v1
	v_add_u32_e32 v8, v9, v8
	v_mul_lo_u32 v9, s3, v1
	v_add_u32_e32 v12, v8, v9
	v_mul_hi_u32 v14, v5, v10
	v_mul_lo_u32 v15, v5, v10
	v_mul_hi_u32 v9, v1, v12
	v_mul_lo_u32 v8, v1, v12
	v_mul_hi_u32 v10, v1, v10
	v_mov_b32_e32 v11, v4
	v_lshl_add_u64 v[8:9], v[10:11], 0, v[8:9]
	v_add_co_u32_e32 v8, vcc, v8, v15
	v_mul_hi_u32 v13, v5, v12
	s_nop 0
	v_addc_co_u32_e32 v8, vcc, v9, v14, vcc
	v_mul_lo_u32 v10, v5, v12
	s_nop 0
	v_addc_co_u32_e32 v11, vcc, 0, v13, vcc
	v_mov_b32_e32 v9, v4
	v_lshl_add_u64 v[8:9], v[8:9], 0, v[10:11]
	v_add_co_u32_e32 v1, vcc, v1, v8
	v_mul_hi_u32 v10, v6, v1
	s_nop 0
	v_addc_co_u32_e32 v5, vcc, v5, v9, vcc
	v_mad_u64_u32 v[8:9], s[2:3], v6, v5, 0
	v_mov_b32_e32 v11, v4
	v_lshl_add_u64 v[8:9], v[10:11], 0, v[8:9]
	v_mad_u64_u32 v[12:13], s[2:3], v7, v1, 0
	v_add_co_u32_e32 v1, vcc, v8, v12
	v_mad_u64_u32 v[10:11], s[2:3], v7, v5, 0
	s_nop 0
	v_addc_co_u32_e32 v8, vcc, v9, v13, vcc
	v_mov_b32_e32 v9, v4
	s_nop 0
	v_addc_co_u32_e32 v11, vcc, 0, v11, vcc
	v_lshl_add_u64 v[8:9], v[8:9], 0, v[10:11]
	v_mul_lo_u32 v1, s19, v8
	v_mul_lo_u32 v5, s18, v9
	v_mad_u64_u32 v[10:11], s[2:3], s18, v8, 0
	v_add3_u32 v1, v11, v5, v1
	v_sub_u32_e32 v5, v7, v1
	v_mov_b32_e32 v11, s19
	v_sub_co_u32_e32 v14, vcc, v6, v10
	v_lshl_add_u64 v[12:13], v[8:9], 0, 1
	s_nop 0
	v_subb_co_u32_e64 v5, s[2:3], v5, v11, vcc
	v_subrev_co_u32_e64 v10, s[2:3], s18, v14
	v_subb_co_u32_e32 v1, vcc, v7, v1, vcc
	s_nop 0
	v_subbrev_co_u32_e64 v5, s[2:3], 0, v5, s[2:3]
	v_cmp_le_u32_e64 s[2:3], s19, v5
	v_cmp_le_u32_e32 vcc, s19, v1
	s_nop 0
	v_cndmask_b32_e64 v11, 0, -1, s[2:3]
	v_cmp_le_u32_e64 s[2:3], s18, v10
	s_nop 1
	v_cndmask_b32_e64 v10, 0, -1, s[2:3]
	v_cmp_eq_u32_e64 s[2:3], s19, v5
	s_nop 1
	v_cndmask_b32_e64 v5, v11, v10, s[2:3]
	v_lshl_add_u64 v[10:11], v[8:9], 0, 2
	v_cmp_ne_u32_e64 s[2:3], 0, v5
	s_nop 1
	v_cndmask_b32_e64 v5, v13, v11, s[2:3]
	v_cndmask_b32_e64 v11, 0, -1, vcc
	v_cmp_le_u32_e32 vcc, s18, v14
	s_nop 1
	v_cndmask_b32_e64 v13, 0, -1, vcc
	v_cmp_eq_u32_e32 vcc, s19, v1
	s_nop 1
	v_cndmask_b32_e32 v1, v11, v13, vcc
	v_cmp_ne_u32_e32 vcc, 0, v1
	v_cndmask_b32_e64 v1, v12, v10, s[2:3]
	s_nop 0
	v_cndmask_b32_e32 v9, v9, v5, vcc
	v_cndmask_b32_e32 v8, v8, v1, vcc
.LBB0_4:                                ;   in Loop: Header=BB0_2 Depth=1
	s_andn2_saveexec_b64 s[2:3], s[20:21]
	s_cbranch_execz .LBB0_6
; %bb.5:                                ;   in Loop: Header=BB0_2 Depth=1
	v_cvt_f32_u32_e32 v1, s18
	s_sub_i32 s20, 0, s18
	v_rcp_iflag_f32_e32 v1, v1
	s_nop 0
	v_mul_f32_e32 v1, 0x4f7ffffe, v1
	v_cvt_u32_f32_e32 v1, v1
	v_mul_lo_u32 v5, s20, v1
	v_mul_hi_u32 v5, v1, v5
	v_add_u32_e32 v1, v1, v5
	v_mul_hi_u32 v1, v6, v1
	v_mul_lo_u32 v5, v1, s18
	v_sub_u32_e32 v5, v6, v5
	v_add_u32_e32 v8, 1, v1
	v_subrev_u32_e32 v9, s18, v5
	v_cmp_le_u32_e32 vcc, s18, v5
	s_nop 1
	v_cndmask_b32_e32 v5, v5, v9, vcc
	v_cndmask_b32_e32 v1, v1, v8, vcc
	v_add_u32_e32 v8, 1, v1
	v_cmp_le_u32_e32 vcc, s18, v5
	v_mov_b32_e32 v9, v4
	s_nop 0
	v_cndmask_b32_e32 v8, v1, v8, vcc
.LBB0_6:                                ;   in Loop: Header=BB0_2 Depth=1
	s_or_b64 exec, exec, s[2:3]
	v_mad_u64_u32 v[10:11], s[2:3], v8, s18, 0
	s_load_dwordx2 s[2:3], s[12:13], 0x0
	v_mul_lo_u32 v1, v9, s18
	v_mul_lo_u32 v5, v8, s19
	v_add3_u32 v1, v11, v5, v1
	v_sub_co_u32_e32 v5, vcc, v6, v10
	s_add_u32 s14, s14, 1
	s_nop 0
	v_subb_co_u32_e32 v1, vcc, v7, v1, vcc
	s_addc_u32 s15, s15, 0
	s_waitcnt lgkmcnt(0)
	v_mul_lo_u32 v1, s2, v1
	v_mul_lo_u32 v6, s3, v5
	v_mad_u64_u32 v[2:3], s[2:3], s2, v5, v[2:3]
	s_add_u32 s12, s12, 8
	v_add3_u32 v3, v6, v3, v1
	s_addc_u32 s13, s13, 0
	v_mov_b64_e32 v[6:7], s[6:7]
	s_add_u32 s16, s16, 8
	v_cmp_ge_u64_e32 vcc, s[14:15], v[6:7]
	s_addc_u32 s17, s17, 0
	s_cbranch_vccnz .LBB0_9
; %bb.7:                                ;   in Loop: Header=BB0_2 Depth=1
	v_mov_b64_e32 v[6:7], v[8:9]
	s_branch .LBB0_2
.LBB0_8:
	v_mov_b64_e32 v[8:9], v[6:7]
.LBB0_9:
	s_lshl_b64 s[2:3], s[6:7], 3
	s_add_u32 s2, s10, s2
	s_addc_u32 s3, s11, s3
	s_load_dwordx2 s[6:7], s[2:3], 0x0
	s_load_dwordx2 s[10:11], s[0:1], 0x20
	s_mov_b32 s2, 0x2492493
                                        ; implicit-def: $vgpr18
                                        ; implicit-def: $vgpr16
                                        ; implicit-def: $vgpr22
                                        ; implicit-def: $vgpr36
                                        ; implicit-def: $vgpr20
                                        ; implicit-def: $vgpr34
                                        ; implicit-def: $vgpr24
                                        ; implicit-def: $vgpr26
                                        ; implicit-def: $vgpr28
                                        ; implicit-def: $vgpr30
                                        ; implicit-def: $vgpr32
                                        ; implicit-def: $vgpr38
                                        ; implicit-def: $vgpr40
                                        ; implicit-def: $vgpr44
                                        ; implicit-def: $vgpr42
	s_waitcnt lgkmcnt(0)
	v_mul_lo_u32 v1, s6, v9
	v_mul_lo_u32 v4, s7, v8
	v_mad_u64_u32 v[2:3], s[0:1], s6, v8, v[2:3]
	v_add3_u32 v3, v4, v3, v1
	v_mul_hi_u32 v1, v0, s2
	v_mul_u32_u24_e32 v1, 0x70, v1
	v_cmp_gt_u64_e64 s[0:1], s[10:11], v[8:9]
	v_sub_u32_e32 v0, v0, v1
	v_lshl_add_u64 v[2:3], v[2:3], 3, s[8:9]
                                        ; implicit-def: $vgpr4
	s_and_saveexec_b64 s[2:3], s[0:1]
	s_cbranch_execz .LBB0_13
; %bb.10:
	v_mov_b32_e32 v1, 0
	v_lshl_add_u64 v[6:7], v[0:1], 3, v[2:3]
	v_add_co_u32_e32 v4, vcc, 0x1000, v6
                                        ; implicit-def: $vgpr37
	s_nop 1
	v_addc_co_u32_e32 v5, vcc, 0, v7, vcc
	v_add_co_u32_e32 v8, vcc, 0x2000, v6
	s_nop 1
	v_addc_co_u32_e32 v9, vcc, 0, v7, vcc
	global_load_dwordx2 v[20:21], v[6:7], off
	global_load_dwordx2 v[24:25], v[6:7], off offset:896
	global_load_dwordx2 v[26:27], v[6:7], off offset:1792
	;; [unrolled: 1-line block ×13, first 2 shown]
	v_cmp_gt_u32_e32 vcc, 56, v0
                                        ; implicit-def: $vgpr5
	s_and_saveexec_b64 s[6:7], vcc
	s_cbranch_execz .LBB0_12
; %bb.11:
	v_add_co_u32_e32 v8, vcc, 0x1000, v6
	s_nop 1
	v_addc_co_u32_e32 v9, vcc, 0, v7, vcc
	v_add_co_u32_e32 v6, vcc, 0x3000, v6
	s_nop 1
	v_addc_co_u32_e32 v7, vcc, 0, v7, vcc
	global_load_dwordx2 v[36:37], v[8:9], off offset:2176
	global_load_dwordx2 v[4:5], v[6:7], off offset:704
.LBB0_12:
	s_or_b64 exec, exec, s[6:7]
.LBB0_13:
	s_or_b64 exec, exec, s[2:3]
	s_waitcnt vmcnt(3)
	v_sub_f32_e32 v7, v20, v34
	v_fma_f32 v6, v20, 2.0, -v7
	v_sub_f32_e32 v9, v24, v22
	v_sub_f32_e32 v11, v26, v16
	;; [unrolled: 1-line block ×4, first 2 shown]
	s_waitcnt vmcnt(1)
	v_sub_f32_e32 v49, v40, v44
	s_waitcnt vmcnt(0)
	v_sub_f32_e32 v51, v42, v18
	v_pk_add_f32 v[4:5], v[36:37], v[4:5] neg_lo:[0,1] neg_hi:[0,1]
	v_add_u32_e32 v1, 0x70, v0
	v_add_u32_e32 v53, 0xe0, v0
	;; [unrolled: 1-line block ×7, first 2 shown]
	v_fma_f32 v8, v24, 2.0, -v9
	v_fma_f32 v10, v26, 2.0, -v11
	;; [unrolled: 1-line block ×7, first 2 shown]
	v_lshl_add_u32 v24, v0, 3, 0
	v_lshl_add_u32 v26, v1, 3, 0
	;; [unrolled: 1-line block ×7, first 2 shown]
	v_cmp_gt_u32_e32 vcc, 56, v0
	v_lshl_add_u32 v34, v16, 3, 0
	ds_write_b64 v24, v[6:7]
	ds_write_b64 v26, v[8:9]
	;; [unrolled: 1-line block ×7, first 2 shown]
	s_and_saveexec_b64 s[2:3], vcc
	s_cbranch_execz .LBB0_15
; %bb.14:
	v_mov_b32_e32 v13, v4
	ds_write_b64 v34, v[12:13]
.LBB0_15:
	s_or_b64 exec, exec, s[2:3]
	v_lshl_add_u32 v52, v0, 2, 0
	v_add_u32_e32 v6, 0xa00, v52
	v_add_u32_e32 v8, 0x200, v52
	;; [unrolled: 1-line block ×3, first 2 shown]
	s_waitcnt lgkmcnt(0)
	s_barrier
	ds_read2_b32 v[14:15], v6 offset0:32 offset1:200
	v_add_u32_e32 v6, 0xe00, v52
	ds_read2_b32 v[48:49], v8 offset0:96 offset1:208
	v_add_u32_e32 v8, 0x1200, v52
	;; [unrolled: 2-line block ×3, first 2 shown]
	ds_read2_b32 v[46:47], v52 offset1:112
	ds_read2_b32 v[6:7], v6 offset0:56 offset1:168
	ds_read2_b32 v[8:9], v8 offset0:24 offset1:136
	;; [unrolled: 1-line block ×3, first 2 shown]
	s_and_saveexec_b64 s[2:3], vcc
	s_cbranch_execz .LBB0_17
; %bb.16:
	ds_read_b32 v12, v52 offset:3136
	ds_read_b32 v4, v52 offset:6496
.LBB0_17:
	s_or_b64 exec, exec, s[2:3]
	v_sub_f32_e32 v57, v21, v35
	v_sub_f32_e32 v45, v41, v45
	v_fma_f32 v56, v21, 2.0, -v57
	v_sub_f32_e32 v59, v25, v23
	v_sub_f32_e32 v61, v27, v17
	v_sub_f32_e32 v63, v29, v31
	v_sub_f32_e32 v65, v33, v39
	v_fma_f32 v44, v41, 2.0, -v45
	v_sub_f32_e32 v41, v43, v19
	v_fma_f32 v22, v37, 2.0, -v5
	v_fma_f32 v58, v25, 2.0, -v59
	;; [unrolled: 1-line block ×6, first 2 shown]
	s_waitcnt lgkmcnt(0)
	s_barrier
	ds_write_b64 v24, v[56:57]
	ds_write_b64 v26, v[58:59]
	;; [unrolled: 1-line block ×7, first 2 shown]
	s_and_saveexec_b64 s[2:3], vcc
	s_cbranch_execz .LBB0_19
; %bb.18:
	v_mov_b32_e32 v23, v5
	ds_write_b64 v34, v[22:23]
.LBB0_19:
	s_or_b64 exec, exec, s[2:3]
	v_add_u32_e32 v13, 0xa00, v52
	s_waitcnt lgkmcnt(0)
	s_barrier
	ds_read2_b32 v[24:25], v13 offset0:32 offset1:200
	v_add_u32_e32 v13, 0xe00, v52
	ds_read2_b32 v[38:39], v13 offset0:56 offset1:168
	v_add_u32_e32 v13, 0x200, v52
	;; [unrolled: 2-line block ×5, first 2 shown]
	ds_read2_b32 v[28:29], v52 offset1:112
	ds_read2_b32 v[42:43], v13 offset0:120 offset1:232
	v_lshlrev_b32_e32 v56, 1, v0
	v_lshlrev_b32_e32 v57, 1, v1
	;; [unrolled: 1-line block ×7, first 2 shown]
	s_and_saveexec_b64 s[2:3], vcc
	s_cbranch_execz .LBB0_21
; %bb.20:
	ds_read_b32 v22, v52 offset:3136
	ds_read_b32 v5, v52 offset:6496
.LBB0_21:
	s_or_b64 exec, exec, s[2:3]
	v_and_b32_e32 v64, 1, v0
	v_lshlrev_b32_e32 v13, 3, v64
	global_load_dwordx2 v[44:45], v13, s[4:5]
	s_movk_i32 s2, 0xfc
	s_movk_i32 s3, 0x1fc
	;; [unrolled: 1-line block ×5, first 2 shown]
	v_and_or_b32 v13, v56, s2, v64
	v_and_or_b32 v17, v57, s3, v64
	;; [unrolled: 1-line block ×7, first 2 shown]
	v_lshl_add_u32 v65, v13, 2, 0
	v_lshl_add_u32 v66, v17, 2, 0
	v_lshl_add_u32 v67, v18, 2, 0
	v_lshl_add_u32 v68, v19, 2, 0
	v_lshl_add_u32 v69, v20, 2, 0
	v_lshl_add_u32 v70, v21, 2, 0
	v_lshl_add_u32 v71, v23, 2, 0
	s_waitcnt lgkmcnt(0)
	s_barrier
	s_waitcnt vmcnt(0)
	v_mul_f32_e32 v13, v25, v45
	v_mul_f32_e32 v17, v38, v45
	;; [unrolled: 1-line block ×8, first 2 shown]
	v_fmac_f32_e32 v13, v15, v44
	v_fmac_f32_e32 v17, v6, v44
	;; [unrolled: 1-line block ×8, first 2 shown]
	v_sub_f32_e32 v13, v46, v13
	v_sub_f32_e32 v17, v47, v17
	;; [unrolled: 1-line block ×8, first 2 shown]
	v_fma_f32 v26, v46, 2.0, -v13
	v_fma_f32 v30, v47, 2.0, -v17
	;; [unrolled: 1-line block ×3, first 2 shown]
	v_lshlrev_b32_e32 v47, 1, v16
	v_fma_f32 v31, v48, 2.0, -v18
	v_fma_f32 v36, v49, 2.0, -v19
	v_fma_f32 v37, v50, 2.0, -v20
	v_fma_f32 v46, v51, 2.0, -v21
	v_fma_f32 v14, v14, 2.0, -v27
	ds_write2_b32 v65, v26, v13 offset1:2
	ds_write2_b32 v66, v30, v17 offset1:2
	;; [unrolled: 1-line block ×7, first 2 shown]
	s_and_saveexec_b64 s[2:3], vcc
	s_cbranch_execz .LBB0_23
; %bb.22:
	s_movk_i32 s6, 0x6fc
	v_and_or_b32 v12, v47, s6, v64
	v_lshl_add_u32 v12, v12, 2, 0
	ds_write2_b32 v12, v23, v63 offset1:2
.LBB0_23:
	s_or_b64 exec, exec, s[2:3]
	v_add_u32_e32 v14, 0x200, v52
	s_waitcnt lgkmcnt(0)
	s_barrier
	ds_read2_b32 v[30:31], v14 offset0:96 offset1:208
	v_add_u32_e32 v14, 0x1200, v52
	v_add_u32_e32 v12, 0xa00, v52
	ds_read2_b32 v[16:17], v14 offset0:24 offset1:136
	v_add_u32_e32 v14, 0x600, v52
	ds_read2_b32 v[20:21], v12 offset0:32 offset1:200
	;; [unrolled: 2-line block ×3, first 2 shown]
	v_add_u32_e32 v14, 0x1400, v52
	ds_read2_b32 v[26:27], v52 offset1:112
	ds_read2_b32 v[12:13], v12 offset0:56 offset1:168
	ds_read2_b32 v[18:19], v14 offset0:120 offset1:232
	s_and_saveexec_b64 s[2:3], vcc
	s_cbranch_execz .LBB0_25
; %bb.24:
	ds_read_b32 v23, v52 offset:3136
	ds_read_b32 v63, v52 offset:6496
.LBB0_25:
	s_or_b64 exec, exec, s[2:3]
	v_mul_f32_e32 v14, v15, v45
	v_mul_f32_e32 v4, v4, v45
	v_fma_f32 v14, v25, v44, -v14
	v_mul_f32_e32 v6, v6, v45
	v_mul_f32_e32 v7, v7, v45
	;; [unrolled: 1-line block ×6, first 2 shown]
	v_fma_f32 v4, v5, v44, -v4
	v_fma_f32 v6, v38, v44, -v6
	;; [unrolled: 1-line block ×7, first 2 shown]
	v_sub_f32_e32 v5, v28, v14
	v_sub_f32_e32 v49, v22, v4
	v_fma_f32 v14, v28, 2.0, -v5
	v_sub_f32_e32 v6, v29, v6
	v_sub_f32_e32 v7, v32, v7
	;; [unrolled: 1-line block ×6, first 2 shown]
	v_fma_f32 v48, v22, 2.0, -v49
	v_fma_f32 v15, v29, 2.0, -v6
	;; [unrolled: 1-line block ×7, first 2 shown]
	s_waitcnt lgkmcnt(0)
	s_barrier
	ds_write2_b32 v65, v14, v5 offset1:2
	ds_write2_b32 v66, v15, v6 offset1:2
	ds_write2_b32 v67, v25, v7 offset1:2
	ds_write2_b32 v68, v28, v8 offset1:2
	ds_write2_b32 v69, v29, v9 offset1:2
	ds_write2_b32 v70, v32, v10 offset1:2
	ds_write2_b32 v71, v24, v11 offset1:2
	s_and_saveexec_b64 s[2:3], vcc
	s_cbranch_execz .LBB0_27
; %bb.26:
	s_movk_i32 s6, 0x6fc
	v_and_or_b32 v4, v47, s6, v64
	v_lshl_add_u32 v4, v4, 2, 0
	ds_write2_b32 v4, v48, v49 offset1:2
.LBB0_27:
	s_or_b64 exec, exec, s[2:3]
	v_add_u32_e32 v4, 0xa00, v52
	s_waitcnt lgkmcnt(0)
	s_barrier
	ds_read2_b32 v[14:15], v4 offset0:32 offset1:200
	v_add_u32_e32 v4, 0xe00, v52
	ds_read2_b32 v[38:39], v4 offset0:56 offset1:168
	v_add_u32_e32 v4, 0x200, v52
	;; [unrolled: 2-line block ×5, first 2 shown]
	ds_read2_b32 v[28:29], v52 offset1:112
	ds_read2_b32 v[42:43], v4 offset0:120 offset1:232
	s_and_saveexec_b64 s[2:3], vcc
	s_cbranch_execz .LBB0_29
; %bb.28:
	ds_read_b32 v48, v52 offset:3136
	ds_read_b32 v49, v52 offset:6496
.LBB0_29:
	s_or_b64 exec, exec, s[2:3]
	v_and_b32_e32 v50, 3, v0
	v_lshlrev_b32_e32 v4, 3, v50
	global_load_dwordx2 v[44:45], v4, s[4:5] offset:16
	s_movk_i32 s2, 0xf8
	s_movk_i32 s7, 0x7f8
	s_movk_i32 s3, 0x1f8
	s_movk_i32 s6, 0x3f8
	s_movk_i32 s8, 0x5f8
	v_and_or_b32 v4, v56, s2, v50
	v_and_or_b32 v8, v61, s7, v50
	v_and_or_b32 v5, v57, s3, v50
	v_and_or_b32 v6, v58, s6, v50
	v_and_or_b32 v7, v60, s6, v50
	v_and_or_b32 v9, v62, s8, v50
	v_and_or_b32 v10, v59, s7, v50
	v_lshl_add_u32 v51, v4, 2, 0
	v_lshl_add_u32 v67, v8, 2, 0
	;; [unrolled: 1-line block ×7, first 2 shown]
	s_waitcnt lgkmcnt(0)
	s_barrier
	s_waitcnt vmcnt(0)
	v_mul_f32_e32 v4, v15, v45
	v_mul_f32_e32 v8, v41, v45
	;; [unrolled: 1-line block ×8, first 2 shown]
	v_fmac_f32_e32 v4, v21, v44
	v_fmac_f32_e32 v8, v17, v44
	;; [unrolled: 1-line block ×8, first 2 shown]
	v_sub_f32_e32 v4, v26, v4
	v_sub_f32_e32 v8, v36, v8
	;; [unrolled: 1-line block ×8, first 2 shown]
	v_fma_f32 v11, v26, 2.0, -v4
	v_fma_f32 v26, v36, 2.0, -v8
	;; [unrolled: 1-line block ×8, first 2 shown]
	ds_write2_b32 v51, v11, v4 offset1:4
	ds_write2_b32 v64, v22, v5 offset1:4
	;; [unrolled: 1-line block ×7, first 2 shown]
	s_and_saveexec_b64 s[2:3], vcc
	s_cbranch_execz .LBB0_31
; %bb.30:
	s_movk_i32 s6, 0x6f8
	v_and_or_b32 v4, v47, s6, v50
	v_lshl_add_u32 v4, v4, 2, 0
	ds_write2_b32 v4, v36, v46 offset1:4
.LBB0_31:
	s_or_b64 exec, exec, s[2:3]
	v_add_u32_e32 v4, 0xa00, v52
	v_add_u32_e32 v6, 0x200, v52
	;; [unrolled: 1-line block ×3, first 2 shown]
	s_waitcnt lgkmcnt(0)
	s_barrier
	ds_read2_b32 v[10:11], v4 offset0:32 offset1:200
	v_add_u32_e32 v4, 0xe00, v52
	ds_read2_b32 v[24:25], v6 offset0:96 offset1:208
	v_add_u32_e32 v6, 0x1200, v52
	;; [unrolled: 2-line block ×3, first 2 shown]
	ds_read2_b32 v[22:23], v52 offset1:112
	ds_read2_b32 v[4:5], v4 offset0:56 offset1:168
	ds_read2_b32 v[6:7], v6 offset0:24 offset1:136
	;; [unrolled: 1-line block ×3, first 2 shown]
	s_and_saveexec_b64 s[2:3], vcc
	s_cbranch_execz .LBB0_33
; %bb.32:
	ds_read_b32 v36, v52 offset:3136
	ds_read_b32 v46, v52 offset:6496
.LBB0_33:
	s_or_b64 exec, exec, s[2:3]
	v_mul_f32_e32 v20, v21, v45
	v_mul_f32_e32 v12, v12, v45
	;; [unrolled: 1-line block ×4, first 2 shown]
	v_fma_f32 v15, v15, v44, -v20
	v_fma_f32 v12, v38, v44, -v12
	;; [unrolled: 1-line block ×3, first 2 shown]
	v_mul_f32_e32 v17, v17, v45
	v_fma_f32 v18, v42, v44, -v18
	v_mul_f32_e32 v20, v63, v45
	v_mul_f32_e32 v16, v16, v45
	v_fma_f32 v17, v41, v44, -v17
	v_mul_f32_e32 v19, v19, v45
	v_fma_f32 v20, v49, v44, -v20
	v_sub_f32_e32 v15, v28, v15
	v_sub_f32_e32 v12, v29, v12
	v_sub_f32_e32 v13, v32, v13
	v_sub_f32_e32 v18, v35, v18
	v_fma_f32 v16, v40, v44, -v16
	v_fma_f32 v19, v43, v44, -v19
	v_fma_f32 v21, v28, 2.0, -v15
	v_fma_f32 v28, v29, 2.0, -v12
	;; [unrolled: 1-line block ×3, first 2 shown]
	v_sub_f32_e32 v17, v34, v17
	v_fma_f32 v32, v35, 2.0, -v18
	v_sub_f32_e32 v35, v48, v20
	v_sub_f32_e32 v16, v33, v16
	v_fma_f32 v31, v34, 2.0, -v17
	v_sub_f32_e32 v19, v14, v19
	v_fma_f32 v34, v48, 2.0, -v35
	v_fma_f32 v30, v33, 2.0, -v16
	v_fma_f32 v14, v14, 2.0, -v19
	s_waitcnt lgkmcnt(0)
	s_barrier
	ds_write2_b32 v51, v21, v15 offset1:4
	ds_write2_b32 v64, v28, v12 offset1:4
	;; [unrolled: 1-line block ×7, first 2 shown]
	s_and_saveexec_b64 s[2:3], vcc
	s_cbranch_execz .LBB0_35
; %bb.34:
	s_movk_i32 s6, 0x6f8
	v_and_or_b32 v12, v47, s6, v50
	v_lshl_add_u32 v12, v12, 2, 0
	ds_write2_b32 v12, v34, v35 offset1:4
.LBB0_35:
	s_or_b64 exec, exec, s[2:3]
	v_add_u32_e32 v16, 0xe00, v52
	v_add_u32_e32 v18, 0x1200, v52
	s_waitcnt lgkmcnt(0)
	s_barrier
	v_add_u32_e32 v12, 0xa00, v52
	ds_read2_b32 v[20:21], v16 offset0:56 offset1:168
	v_add_u32_e32 v16, 0x200, v52
	ds_read2_b32 v[28:29], v18 offset0:24 offset1:136
	v_add_u32_e32 v18, 0x600, v52
	v_add_u32_e32 v30, 0x1400, v52
	ds_read2_b32 v[14:15], v52 offset1:112
	ds_read2_b32 v[12:13], v12 offset0:32 offset1:200
	ds_read2_b32 v[16:17], v16 offset0:96 offset1:208
	;; [unrolled: 1-line block ×4, first 2 shown]
	s_and_saveexec_b64 s[2:3], vcc
	s_cbranch_execz .LBB0_37
; %bb.36:
	ds_read_b32 v34, v52 offset:3136
	ds_read_b32 v35, v52 offset:6496
.LBB0_37:
	s_or_b64 exec, exec, s[2:3]
	v_and_b32_e32 v37, 7, v0
	v_lshlrev_b32_e32 v32, 3, v37
	global_load_dwordx2 v[32:33], v32, s[4:5] offset:48
	s_movk_i32 s2, 0xf0
	s_movk_i32 s3, 0x1f0
	;; [unrolled: 1-line block ×5, first 2 shown]
	v_and_or_b32 v38, v56, s2, v37
	v_and_or_b32 v39, v57, s3, v37
	v_and_or_b32 v40, v58, s6, v37
	v_and_or_b32 v41, v60, s6, v37
	v_and_or_b32 v42, v61, s7, v37
	v_and_or_b32 v43, v62, s8, v37
	v_and_or_b32 v44, v59, s7, v37
	v_lshl_add_u32 v38, v38, 2, 0
	v_lshl_add_u32 v39, v39, 2, 0
	;; [unrolled: 1-line block ×7, first 2 shown]
	s_waitcnt lgkmcnt(0)
	s_barrier
	s_waitcnt vmcnt(0)
	v_mul_f32_e32 v45, v13, v33
	v_mul_f32_e32 v48, v20, v33
	;; [unrolled: 1-line block ×8, first 2 shown]
	v_fmac_f32_e32 v45, v11, v32
	v_fmac_f32_e32 v48, v4, v32
	;; [unrolled: 1-line block ×8, first 2 shown]
	v_sub_f32_e32 v59, v22, v45
	v_sub_f32_e32 v48, v23, v48
	;; [unrolled: 1-line block ×8, first 2 shown]
	v_fma_f32 v22, v22, 2.0, -v59
	v_fma_f32 v23, v23, 2.0, -v48
	;; [unrolled: 1-line block ×7, first 2 shown]
	ds_write2_b32 v38, v22, v59 offset1:8
	ds_write2_b32 v39, v23, v48 offset1:8
	;; [unrolled: 1-line block ×7, first 2 shown]
	s_and_saveexec_b64 s[2:3], vcc
	s_cbranch_execz .LBB0_39
; %bb.38:
	s_movk_i32 s6, 0x6f0
	v_and_or_b32 v10, v47, s6, v37
	v_lshl_add_u32 v10, v10, 2, 0
	v_fma_f32 v22, v36, 2.0, -v45
	ds_write2_b32 v10, v22, v45 offset1:8
.LBB0_39:
	s_or_b64 exec, exec, s[2:3]
	v_mul_f32_e32 v10, v11, v33
	v_mul_f32_e32 v4, v4, v33
	;; [unrolled: 1-line block ×7, first 2 shown]
	v_fma_f32 v10, v13, v32, -v10
	v_fma_f32 v4, v20, v32, -v4
	;; [unrolled: 1-line block ×7, first 2 shown]
	v_mul_f32_e32 v11, v46, v33
	v_fma_f32 v11, v35, v32, -v11
	v_sub_f32_e32 v28, v14, v10
	v_sub_f32_e32 v4, v15, v4
	;; [unrolled: 1-line block ×7, first 2 shown]
	v_add_u32_e32 v22, 0x600, v52
	v_add_u32_e32 v26, 0x1000, v52
	;; [unrolled: 1-line block ×6, first 2 shown]
	v_fma_f32 v29, v14, 2.0, -v28
	v_fma_f32 v31, v15, 2.0, -v4
	v_fma_f32 v32, v16, 2.0, -v5
	v_fma_f32 v35, v17, 2.0, -v33
	v_fma_f32 v48, v18, 2.0, -v36
	v_fma_f32 v49, v19, 2.0, -v8
	v_fma_f32 v50, v12, 2.0, -v9
	v_sub_f32_e32 v46, v34, v11
	s_waitcnt lgkmcnt(0)
	s_barrier
	ds_read2_b32 v[12:13], v52 offset1:112
	ds_read2_b32 v[6:7], v22 offset0:64 offset1:176
	ds_read2_b32 v[20:21], v26 offset0:96 offset1:208
	;; [unrolled: 1-line block ×6, first 2 shown]
	ds_read_b32 v25, v52 offset:6272
	s_waitcnt lgkmcnt(0)
	s_barrier
	ds_write2_b32 v38, v29, v28 offset1:8
	ds_write2_b32 v39, v31, v4 offset1:8
	;; [unrolled: 1-line block ×7, first 2 shown]
	s_and_saveexec_b64 s[2:3], vcc
	s_cbranch_execz .LBB0_41
; %bb.40:
	s_movk_i32 s6, 0x6f0
	v_and_or_b32 v5, v47, s6, v37
	v_fma_f32 v4, v34, 2.0, -v46
	v_lshl_add_u32 v5, v5, 2, 0
	ds_write2_b32 v5, v4, v46 offset1:8
.LBB0_41:
	s_or_b64 exec, exec, s[2:3]
	v_and_b32_e32 v47, 15, v0
	v_lshlrev_b32_e32 v4, 4, v47
	s_waitcnt lgkmcnt(0)
	s_barrier
	global_load_dwordx4 v[58:61], v4, s[4:5] offset:112
	ds_read2_b32 v[8:9], v52 offset1:112
	ds_read2_b32 v[4:5], v22 offset0:64 offset1:176
	ds_read2_b32 v[40:41], v26 offset0:96 offset1:208
	;; [unrolled: 1-line block ×6, first 2 shown]
	ds_read_b32 v44, v52 offset:6272
	s_waitcnt lgkmcnt(0)
	s_barrier
	v_cmp_gt_u32_e32 vcc, 16, v0
	s_waitcnt vmcnt(0)
	v_mul_f32_e32 v33, v62, v59
	v_mul_f32_e32 v38, v27, v61
	v_mul_f32_e32 v48, v7, v59
	v_mul_f32_e32 v65, v16, v61
	v_fmac_f32_e32 v33, v14, v58
	v_fmac_f32_e32 v38, v17, v60
	v_mul_f32_e32 v30, v5, v59
	v_mul_f32_e32 v34, v40, v61
	;; [unrolled: 1-line block ×4, first 2 shown]
	v_fma_f32 v51, v5, v58, -v48
	v_fma_f32 v48, v26, v60, -v65
	v_add_f32_e32 v26, v33, v38
	v_mul_f32_e32 v49, v20, v61
	v_mul_f32_e32 v36, v41, v61
	;; [unrolled: 1-line block ×7, first 2 shown]
	v_fmac_f32_e32 v30, v7, v58
	v_fmac_f32_e32 v34, v20, v60
	;; [unrolled: 1-line block ×3, first 2 shown]
	v_add_f32_e32 v25, v11, v33
	v_fmac_f32_e32 v11, -0.5, v26
	v_lshrrev_b32_e32 v26, 4, v0
	v_mul_f32_e32 v50, v18, v59
	v_mul_f32_e32 v66, v14, v59
	v_fma_f32 v56, v40, v60, -v49
	v_fmac_f32_e32 v32, v19, v58
	v_fmac_f32_e32 v37, v16, v60
	;; [unrolled: 1-line block ×3, first 2 shown]
	v_add_f32_e32 v14, v30, v34
	v_mul_u32_u24_e32 v26, 48, v26
	v_mul_f32_e32 v31, v42, v59
	v_mul_f32_e32 v64, v19, v59
	;; [unrolled: 1-line block ×3, first 2 shown]
	v_fma_f32 v49, v42, v58, -v50
	v_fma_f32 v50, v41, v60, -v57
	v_add_f32_e32 v7, v12, v30
	v_sub_f32_e32 v15, v51, v56
	v_add_f32_e32 v20, v32, v37
	v_add_f32_e32 v57, v35, v39
	v_fma_f32 v12, -0.5, v14, v12
	v_or_b32_e32 v26, v26, v47
	v_fma_f32 v40, v44, v60, -v61
	v_add_f32_e32 v19, v10, v32
	v_add_f32_e32 v44, v6, v35
	;; [unrolled: 1-line block ×3, first 2 shown]
	v_fma_f32 v10, -0.5, v20, v10
	v_fmac_f32_e32 v6, -0.5, v57
	v_fmamk_f32 v20, v15, 0xbf5db3d7, v12
	v_lshl_add_u32 v57, v26, 2, 0
	v_fmac_f32_e32 v31, v18, v58
	v_fmac_f32_e32 v12, 0x3f5db3d7, v15
	ds_write2_b32 v57, v7, v20 offset1:16
	ds_write_b32 v57, v12 offset:128
	v_lshrrev_b32_e32 v7, 4, v1
	v_fmac_f32_e32 v36, v21, v60
	v_fma_f32 v5, v63, v58, -v59
	v_add_f32_e32 v16, v13, v31
	v_mul_u32_u24_e32 v7, 48, v7
	v_fma_f32 v43, v43, v58, -v64
	v_fma_f32 v41, v62, v58, -v66
	v_add_f32_e32 v17, v31, v36
	v_sub_f32_e32 v58, v5, v40
	v_add_f32_e32 v14, v16, v36
	v_add_f32_e32 v16, v19, v37
	v_add_f32_e32 v19, v44, v39
	v_or_b32_e32 v7, v7, v47
	v_lshrrev_b32_e32 v44, 4, v53
	v_fmac_f32_e32 v13, -0.5, v17
	v_add_f32_e32 v17, v25, v38
	v_fmamk_f32 v25, v58, 0xbf5db3d7, v6
	v_fmac_f32_e32 v6, 0x3f5db3d7, v58
	v_lshl_add_u32 v58, v7, 2, 0
	v_mul_u32_u24_e32 v7, 48, v44
	v_or_b32_e32 v7, v7, v47
	v_lshl_add_u32 v59, v7, 2, 0
	v_lshrrev_b32_e32 v7, 4, v55
	v_mul_u32_u24_e32 v7, 48, v7
	v_or_b32_e32 v7, v7, v47
	v_lshl_add_u32 v55, v7, 2, 0
	v_lshrrev_b32_e32 v7, 4, v54
	v_fma_f32 v42, v27, v60, -v67
	v_mul_u32_u24_e32 v7, 48, v7
	v_sub_f32_e32 v18, v49, v50
	v_sub_f32_e32 v21, v43, v48
	;; [unrolled: 1-line block ×3, first 2 shown]
	v_or_b32_e32 v7, v7, v47
	v_fmamk_f32 v15, v18, 0xbf5db3d7, v13
	v_fmac_f32_e32 v13, 0x3f5db3d7, v18
	v_fmamk_f32 v18, v21, 0xbf5db3d7, v10
	v_fmac_f32_e32 v10, 0x3f5db3d7, v21
	;; [unrolled: 2-line block ×3, first 2 shown]
	v_lshl_add_u32 v60, v7, 2, 0
	ds_write2_b32 v58, v14, v15 offset1:16
	ds_write_b32 v58, v13 offset:128
	ds_write2_b32 v59, v16, v18 offset1:16
	ds_write_b32 v59, v10 offset:128
	;; [unrolled: 2-line block ×4, first 2 shown]
	s_waitcnt lgkmcnt(0)
	s_barrier
	ds_read2_b32 v[10:11], v52 offset1:112
	ds_read2_b32 v[26:27], v24 offset0:112 offset1:224
	ds_read2_b32 v[24:25], v22 offset0:96 offset1:208
	;; [unrolled: 1-line block ×3, first 2 shown]
	v_add_u32_e32 v54, 0xe00, v52
	v_add_u32_e32 v61, 0x1200, v52
	;; [unrolled: 1-line block ×3, first 2 shown]
	ds_read2_b32 v[20:21], v54 offset0:64 offset1:176
	ds_read2_b32 v[18:19], v61 offset0:48 offset1:160
	;; [unrolled: 1-line block ×3, first 2 shown]
                                        ; implicit-def: $vgpr14
                                        ; implicit-def: $vgpr12
                                        ; implicit-def: $vgpr47
	s_and_saveexec_b64 s[2:3], vcc
	s_cbranch_execz .LBB0_43
; %bb.42:
	v_add_u32_e32 v6, 0x380, v52
	v_add_u32_e32 v12, 0xb00, v52
	ds_read2_b32 v[6:7], v6 offset1:240
	ds_read2_b32 v[14:15], v12 offset1:240
	v_add_u32_e32 v12, 0x1280, v52
	ds_read2_b32 v[12:13], v12 offset1:240
	ds_read_b32 v47, v52 offset:6656
	s_waitcnt lgkmcnt(3)
	v_mov_b32_e32 v45, v7
.LBB0_43:
	s_or_b64 exec, exec, s[2:3]
	v_add_f32_e32 v7, v8, v51
	v_add_f32_e32 v51, v51, v56
	v_fma_f32 v8, -0.5, v51, v8
	v_sub_f32_e32 v30, v30, v34
	v_fmamk_f32 v34, v30, 0x3f5db3d7, v8
	v_fmac_f32_e32 v8, 0xbf5db3d7, v30
	v_add_f32_e32 v30, v9, v49
	v_add_f32_e32 v49, v49, v50
	v_fmac_f32_e32 v9, -0.5, v49
	v_sub_f32_e32 v31, v31, v36
	v_fmamk_f32 v36, v31, 0x3f5db3d7, v9
	v_fmac_f32_e32 v9, 0xbf5db3d7, v31
	v_add_f32_e32 v31, v28, v43
	v_add_f32_e32 v43, v43, v48
	v_fma_f32 v28, -0.5, v43, v28
	v_sub_f32_e32 v32, v32, v37
	v_fmamk_f32 v37, v32, 0x3f5db3d7, v28
	v_fmac_f32_e32 v28, 0xbf5db3d7, v32
	v_add_f32_e32 v32, v29, v41
	v_add_f32_e32 v41, v41, v42
	v_fmac_f32_e32 v29, -0.5, v41
	v_sub_f32_e32 v33, v33, v38
	v_fmamk_f32 v38, v33, 0x3f5db3d7, v29
	v_fmac_f32_e32 v29, 0xbf5db3d7, v33
	v_add_f32_e32 v33, v4, v5
	v_add_f32_e32 v5, v5, v40
	v_fmac_f32_e32 v4, -0.5, v5
	v_sub_f32_e32 v5, v35, v39
	v_add_f32_e32 v7, v7, v56
	v_fmamk_f32 v35, v5, 0x3f5db3d7, v4
	v_fmac_f32_e32 v4, 0xbf5db3d7, v5
	v_add_u32_e32 v5, 0x200, v52
	v_add_f32_e32 v30, v30, v50
	v_add_f32_e32 v31, v31, v48
	;; [unrolled: 1-line block ×4, first 2 shown]
	s_waitcnt lgkmcnt(0)
	s_barrier
	ds_write2_b32 v57, v7, v34 offset1:16
	ds_write_b32 v57, v8 offset:128
	ds_write2_b32 v58, v30, v36 offset1:16
	ds_write_b32 v58, v9 offset:128
	;; [unrolled: 2-line block ×5, first 2 shown]
	s_waitcnt lgkmcnt(0)
	s_barrier
	ds_read2_b32 v[42:43], v5 offset0:112 offset1:224
	v_add_u32_e32 v5, 0x600, v52
	ds_read2_b32 v[40:41], v5 offset0:96 offset1:208
	v_add_u32_e32 v5, 0xa00, v52
	ds_read2_b32 v[8:9], v52 offset1:112
	ds_read2_b32 v[38:39], v5 offset0:80 offset1:192
	ds_read2_b32 v[36:37], v54 offset0:64 offset1:176
	;; [unrolled: 1-line block ×4, first 2 shown]
                                        ; implicit-def: $vgpr30
                                        ; implicit-def: $vgpr28
                                        ; implicit-def: $vgpr57
	s_and_saveexec_b64 s[2:3], vcc
	s_cbranch_execz .LBB0_45
; %bb.44:
	v_add_u32_e32 v4, 0x380, v52
	v_add_u32_e32 v7, 0xb00, v52
	ds_read2_b32 v[4:5], v4 offset1:240
	ds_read2_b32 v[30:31], v7 offset1:240
	v_add_u32_e32 v7, 0x1280, v52
	ds_read2_b32 v[28:29], v7 offset1:240
	ds_read_b32 v57, v52 offset:6656
	s_waitcnt lgkmcnt(3)
	v_mov_b32_e32 v46, v5
.LBB0_45:
	s_or_b64 exec, exec, s[2:3]
	s_movk_i32 s2, 0xab
	v_mul_lo_u16_sdwa v5, v0, s2 dst_sel:DWORD dst_unused:UNUSED_PAD src0_sel:BYTE_0 src1_sel:DWORD
	v_lshrrev_b16_e32 v74, 13, v5
	v_mul_lo_u16_e32 v5, 48, v74
	v_sub_u16_e32 v75, v0, v5
	v_mov_b32_e32 v5, 6
	v_mul_u32_u24_sdwa v7, v75, v5 dst_sel:DWORD dst_unused:UNUSED_PAD src0_sel:BYTE_0 src1_sel:DWORD
	v_lshlrev_b32_e32 v7, 3, v7
	global_load_dwordx4 v[58:61], v7, s[4:5] offset:368
	v_mul_lo_u16_sdwa v48, v1, s2 dst_sel:DWORD dst_unused:UNUSED_PAD src0_sel:BYTE_0 src1_sel:DWORD
	v_lshrrev_b16_e32 v76, 13, v48
	v_mul_lo_u16_e32 v48, 48, v76
	v_sub_u16_e32 v77, v1, v48
	v_mul_u32_u24_sdwa v5, v77, v5 dst_sel:DWORD dst_unused:UNUSED_PAD src0_sel:BYTE_0 src1_sel:DWORD
	v_lshlrev_b32_e32 v5, 3, v5
	global_load_dwordx4 v[62:65], v5, s[4:5] offset:368
	global_load_dwordx4 v[66:69], v7, s[4:5] offset:384
	;; [unrolled: 1-line block ×3, first 2 shown]
	s_mov_b32 s2, 0xaaab
	s_mov_b32 s6, 0xbf5ff5aa
	;; [unrolled: 1-line block ×5, first 2 shown]
	s_waitcnt vmcnt(3) lgkmcnt(6)
	v_mul_f32_e32 v48, v42, v59
	v_mul_f32_e32 v50, v26, v59
	v_fmac_f32_e32 v48, v26, v58
	v_mul_u32_u24_sdwa v26, v53, s2 dst_sel:DWORD dst_unused:UNUSED_PAD src0_sel:WORD_0 src1_sel:DWORD
	v_lshrrev_b32_e32 v26, 21, v26
	s_waitcnt lgkmcnt(5)
	v_mul_f32_e32 v49, v40, v61
	v_mul_lo_u16_e32 v26, 48, v26
	v_mul_f32_e32 v51, v24, v61
	v_fmac_f32_e32 v49, v24, v60
	s_waitcnt vmcnt(2)
	v_mul_f32_e32 v24, v27, v63
	v_sub_u16_e32 v78, v53, v26
	v_fma_f32 v51, v40, v60, -v51
	v_fma_f32 v40, v43, v62, -v24
	v_mul_u32_u24_e32 v24, 6, v78
	v_fma_f32 v50, v42, v58, -v50
	global_load_dwordx4 v[58:61], v7, s[4:5] offset:400
	v_mul_f32_e32 v7, v43, v63
	v_lshlrev_b32_e32 v79, 3, v24
	v_mul_f32_e32 v42, v41, v65
	v_mul_f32_e32 v24, v25, v65
	v_fmac_f32_e32 v7, v27, v62
	v_fmac_f32_e32 v42, v25, v64
	v_fma_f32 v41, v41, v64, -v24
	global_load_dwordx4 v[24:27], v5, s[4:5] offset:400
	global_load_dwordx4 v[62:65], v79, s[4:5] offset:368
	s_waitcnt vmcnt(4) lgkmcnt(3)
	v_mul_f32_e32 v43, v38, v67
	v_mul_f32_e32 v5, v22, v67
	s_waitcnt lgkmcnt(2)
	v_mul_f32_e32 v54, v36, v69
	v_mul_f32_e32 v56, v20, v69
	v_fmac_f32_e32 v43, v22, v66
	v_fma_f32 v55, v38, v66, -v5
	v_fmac_f32_e32 v54, v20, v68
	v_fma_f32 v56, v36, v68, -v56
	s_waitcnt vmcnt(3)
	v_mul_f32_e32 v5, v23, v71
	global_load_dwordx4 v[66:69], v79, s[4:5] offset:384
	v_mul_f32_e32 v20, v39, v71
	v_fma_f32 v36, v39, v70, -v5
	v_mul_f32_e32 v38, v37, v73
	v_mul_f32_e32 v5, v21, v73
	v_fmac_f32_e32 v20, v23, v70
	v_fmac_f32_e32 v38, v21, v72
	v_fma_f32 v21, v37, v72, -v5
	global_load_dwordx4 v[70:73], v79, s[4:5] offset:400
	s_waitcnt lgkmcnt(0)
	s_barrier
	s_waitcnt vmcnt(4)
	v_mul_f32_e32 v39, v32, v61
	v_mul_f32_e32 v5, v18, v59
	;; [unrolled: 1-line block ×3, first 2 shown]
	v_fmac_f32_e32 v39, v16, v60
	v_mul_f32_e32 v37, v34, v59
	v_fma_f32 v34, v34, v58, -v5
	v_fmac_f32_e32 v37, v18, v58
	v_fma_f32 v58, v32, v60, -v22
	s_waitcnt vmcnt(3)
	v_mul_f32_e32 v16, v35, v25
	v_fmac_f32_e32 v16, v19, v24
	v_mul_f32_e32 v5, v19, v25
	v_mul_f32_e32 v19, v33, v27
	;; [unrolled: 1-line block ×3, first 2 shown]
	s_waitcnt vmcnt(2)
	v_mul_f32_e32 v25, v14, v65
	v_mul_f32_e32 v22, v30, v65
	v_fma_f32 v25, v30, v64, -v25
	v_fmac_f32_e32 v19, v17, v26
	v_fma_f32 v17, v33, v26, -v23
	v_fma_f32 v18, v35, v24, -v5
	s_waitcnt vmcnt(1)
	v_mul_f32_e32 v27, v28, v69
	v_fmac_f32_e32 v27, v12, v68
	v_mul_f32_e32 v12, v12, v69
	v_fma_f32 v28, v28, v68, -v12
	v_mul_f32_e32 v23, v31, v67
	v_mul_f32_e32 v26, v15, v67
	v_mul_f32_e32 v5, v46, v63
	v_fmac_f32_e32 v23, v15, v66
	s_waitcnt vmcnt(0)
	v_mul_f32_e32 v30, v29, v71
	v_mul_f32_e32 v12, v13, v71
	v_fmac_f32_e32 v30, v13, v70
	v_fma_f32 v13, v29, v70, -v12
	v_mul_f32_e32 v12, v47, v73
	v_fma_f32 v26, v31, v66, -v26
	v_fma_f32 v31, v57, v72, -v12
	v_add_f32_e32 v12, v48, v39
	v_add_f32_e32 v15, v49, v37
	v_mul_f32_e32 v24, v45, v63
	v_fmac_f32_e32 v5, v45, v62
	v_fmac_f32_e32 v22, v14, v64
	v_mul_f32_e32 v29, v57, v73
	v_sub_f32_e32 v14, v50, v58
	v_sub_f32_e32 v32, v51, v34
	v_add_f32_e32 v33, v43, v54
	v_sub_f32_e32 v35, v56, v55
	v_add_f32_e32 v45, v15, v12
	v_fma_f32 v24, v46, v62, -v24
	v_fmac_f32_e32 v29, v47, v72
	v_sub_f32_e32 v46, v15, v12
	v_sub_f32_e32 v12, v12, v33
	;; [unrolled: 1-line block ×3, first 2 shown]
	v_add_f32_e32 v47, v35, v32
	v_sub_f32_e32 v57, v35, v32
	v_sub_f32_e32 v32, v32, v14
	v_add_f32_e32 v33, v33, v45
	v_sub_f32_e32 v35, v14, v35
	v_add_f32_e32 v14, v47, v14
	v_add_f32_e32 v10, v10, v33
	v_mul_f32_e32 v12, 0x3f4a47b2, v12
	v_mul_f32_e32 v45, 0x3d64c772, v15
	;; [unrolled: 1-line block ×4, first 2 shown]
	v_fmamk_f32 v33, v33, 0xbf955555, v10
	v_fma_f32 v45, v46, s7, -v45
	v_fma_f32 v46, v46, s8, -v12
	v_fmac_f32_e32 v12, 0x3d64c772, v15
	v_fma_f32 v15, v32, s6, -v47
	v_fmac_f32_e32 v47, 0xbeae86e6, v35
	v_fma_f32 v32, v35, s9, -v57
	v_add_f32_e32 v12, v12, v33
	v_add_f32_e32 v35, v45, v33
	v_add_f32_e32 v33, v46, v33
	v_fmac_f32_e32 v47, 0xbee1c552, v14
	v_fmac_f32_e32 v32, 0xbee1c552, v14
	;; [unrolled: 1-line block ×3, first 2 shown]
	v_add_f32_e32 v14, v47, v12
	v_add_f32_e32 v45, v32, v33
	v_sub_f32_e32 v32, v33, v32
	v_sub_f32_e32 v12, v12, v47
	v_add_f32_e32 v33, v7, v19
	v_add_f32_e32 v47, v42, v16
	;; [unrolled: 1-line block ×4, first 2 shown]
	v_sub_f32_e32 v57, v41, v18
	v_sub_f32_e32 v61, v47, v33
	v_sub_f32_e32 v33, v33, v59
	v_sub_f32_e32 v47, v59, v47
	v_add_f32_e32 v59, v59, v60
	v_sub_f32_e32 v60, v21, v36
	v_sub_f32_e32 v46, v35, v15
	v_add_f32_e32 v15, v15, v35
	v_sub_f32_e32 v35, v40, v17
	v_add_f32_e32 v62, v60, v57
	v_sub_f32_e32 v63, v60, v57
	v_sub_f32_e32 v60, v35, v60
	;; [unrolled: 1-line block ×3, first 2 shown]
	v_add_f32_e32 v35, v62, v35
	v_mul_f32_e32 v33, 0x3f4a47b2, v33
	v_mul_f32_e32 v62, 0x3d64c772, v47
	v_add_f32_e32 v11, v11, v59
	v_fma_f32 v62, v61, s7, -v62
	v_fma_f32 v61, v61, s8, -v33
	v_fmac_f32_e32 v33, 0x3d64c772, v47
	v_mul_f32_e32 v47, 0x3f08b237, v63
	v_mul_f32_e32 v63, 0xbf5ff5aa, v57
	v_fma_f32 v57, v57, s6, -v47
	v_fmac_f32_e32 v47, 0xbeae86e6, v60
	v_fma_f32 v60, v60, s9, -v63
	v_fmamk_f32 v59, v59, 0xbf955555, v11
	v_add_f32_e32 v33, v33, v59
	v_add_f32_e32 v62, v62, v59
	;; [unrolled: 1-line block ×3, first 2 shown]
	v_fmac_f32_e32 v47, 0xbee1c552, v35
	v_fmac_f32_e32 v57, 0xbee1c552, v35
	;; [unrolled: 1-line block ×3, first 2 shown]
	v_mov_b32_e32 v35, 2
	v_add_f32_e32 v61, v47, v33
	v_sub_f32_e32 v63, v62, v57
	v_add_f32_e32 v57, v57, v62
	v_add_f32_e32 v62, v60, v59
	v_sub_f32_e32 v59, v59, v60
	v_sub_f32_e32 v47, v33, v47
	v_mul_u32_u24_e32 v33, 0x540, v74
	v_lshlrev_b32_sdwa v60, v35, v75 dst_sel:DWORD dst_unused:UNUSED_PAD src0_sel:DWORD src1_sel:BYTE_0
	v_add3_u32 v33, 0, v33, v60
	ds_write2_b32 v33, v10, v14 offset1:48
	ds_write2_b32 v33, v45, v46 offset0:96 offset1:144
	ds_write2_b32 v33, v15, v32 offset0:192 offset1:240
	ds_write_b32 v33, v12 offset:1152
	v_mul_u32_u24_e32 v10, 0x540, v76
	v_lshlrev_b32_sdwa v12, v35, v77 dst_sel:DWORD dst_unused:UNUSED_PAD src0_sel:DWORD src1_sel:BYTE_0
	v_add3_u32 v35, 0, v10, v12
	v_lshl_add_u32 v32, v78, 2, 0
	ds_write2_b32 v35, v11, v61 offset1:48
	ds_write2_b32 v35, v62, v63 offset0:96 offset1:144
	ds_write2_b32 v35, v57, v59 offset0:192 offset1:240
	ds_write_b32 v35, v47 offset:1152
	s_and_saveexec_b64 s[2:3], vcc
	s_cbranch_execz .LBB0_47
; %bb.46:
	v_add_f32_e32 v10, v5, v29
	v_add_f32_e32 v14, v22, v30
	;; [unrolled: 1-line block ×4, first 2 shown]
	v_sub_f32_e32 v47, v28, v26
	v_sub_f32_e32 v59, v25, v13
	;; [unrolled: 1-line block ×4, first 2 shown]
	v_add_f32_e32 v11, v11, v46
	v_sub_f32_e32 v46, v24, v31
	v_sub_f32_e32 v60, v47, v59
	v_mul_f32_e32 v12, 0x3f4a47b2, v12
	v_mul_f32_e32 v45, 0x3d64c772, v15
	v_add_f32_e32 v6, v6, v11
	v_sub_f32_e32 v57, v46, v47
	v_mul_f32_e32 v60, 0x3f08b237, v60
	v_add_f32_e32 v47, v47, v59
	v_sub_f32_e32 v10, v14, v10
	v_sub_f32_e32 v14, v59, v46
	v_fmamk_f32 v15, v15, 0x3d64c772, v12
	v_fmamk_f32 v11, v11, 0xbf955555, v6
	;; [unrolled: 1-line block ×3, first 2 shown]
	v_add_f32_e32 v47, v47, v46
	v_fma_f32 v12, v10, s8, -v12
	v_mul_f32_e32 v46, 0xbf5ff5aa, v14
	v_fma_f32 v14, v14, s6, -v60
	v_fma_f32 v10, v10, s7, -v45
	v_add_f32_e32 v15, v15, v11
	v_fmac_f32_e32 v61, 0xbee1c552, v47
	v_fma_f32 v46, v57, s9, -v46
	v_fmac_f32_e32 v14, 0xbee1c552, v47
	v_add_f32_e32 v10, v10, v11
	v_sub_f32_e32 v62, v15, v61
	v_add_f32_e32 v12, v12, v11
	v_fmac_f32_e32 v46, 0xbee1c552, v47
	v_add_f32_e32 v11, v14, v10
	v_sub_f32_e32 v10, v10, v14
	v_add_f32_e32 v14, v61, v15
	v_add_u32_e32 v15, 0x1400, v32
	v_sub_f32_e32 v57, v12, v46
	v_add_f32_e32 v12, v46, v12
	ds_write2_b32 v15, v6, v14 offset0:64 offset1:112
	ds_write2_b32 v15, v12, v10 offset0:160 offset1:208
	v_add_u32_e32 v6, 0x1800, v32
	ds_write2_b32 v6, v11, v57 offset1:48
	ds_write_b32 v32, v62 offset:6528
.LBB0_47:
	s_or_b64 exec, exec, s[2:3]
	v_add_f32_e32 v6, v50, v58
	v_add_f32_e32 v11, v51, v34
	v_sub_f32_e32 v12, v49, v37
	v_add_f32_e32 v14, v55, v56
	v_sub_f32_e32 v15, v54, v43
	;; [unrolled: 2-line block ×3, first 2 shown]
	v_sub_f32_e32 v37, v11, v6
	v_sub_f32_e32 v6, v6, v14
	;; [unrolled: 1-line block ×3, first 2 shown]
	v_add_f32_e32 v39, v15, v12
	v_sub_f32_e32 v43, v15, v12
	v_add_f32_e32 v14, v14, v34
	v_sub_f32_e32 v15, v10, v15
	v_sub_f32_e32 v12, v12, v10
	v_add_f32_e32 v10, v39, v10
	v_add_f32_e32 v34, v8, v14
	v_mul_f32_e32 v6, 0x3f4a47b2, v6
	v_mul_f32_e32 v8, 0x3d64c772, v11
	;; [unrolled: 1-line block ×4, first 2 shown]
	v_fmamk_f32 v14, v14, 0xbf955555, v34
	v_fma_f32 v8, v37, s7, -v8
	v_fma_f32 v37, v37, s8, -v6
	v_fmac_f32_e32 v6, 0x3d64c772, v11
	v_fma_f32 v11, v12, s6, -v39
	v_fmac_f32_e32 v39, 0xbeae86e6, v15
	v_fma_f32 v12, v15, s9, -v43
	v_add_f32_e32 v6, v6, v14
	v_add_f32_e32 v8, v8, v14
	v_fmac_f32_e32 v39, 0xbee1c552, v10
	v_fmac_f32_e32 v11, 0xbee1c552, v10
	v_add_f32_e32 v14, v37, v14
	v_fmac_f32_e32 v12, 0xbee1c552, v10
	v_sub_f32_e32 v37, v6, v39
	v_add_f32_e32 v45, v11, v8
	v_sub_f32_e32 v46, v8, v11
	v_add_f32_e32 v39, v39, v6
	v_add_f32_e32 v6, v40, v17
	;; [unrolled: 1-line block ×3, first 2 shown]
	v_sub_f32_e32 v43, v14, v12
	v_add_f32_e32 v47, v12, v14
	v_sub_f32_e32 v10, v42, v16
	v_add_f32_e32 v11, v36, v21
	;; [unrolled: 2-line block ×3, first 2 shown]
	v_sub_f32_e32 v7, v7, v19
	v_sub_f32_e32 v15, v8, v6
	;; [unrolled: 1-line block ×5, first 2 shown]
	v_add_f32_e32 v11, v11, v14
	v_add_f32_e32 v16, v12, v10
	v_sub_f32_e32 v10, v10, v7
	v_add_f32_e32 v36, v9, v11
	v_mul_f32_e32 v6, 0x3f4a47b2, v6
	v_mul_f32_e32 v9, 0x3d64c772, v8
	;; [unrolled: 1-line block ×3, first 2 shown]
	v_sub_f32_e32 v12, v7, v12
	v_add_f32_e32 v7, v16, v7
	v_fmamk_f32 v11, v11, 0xbf955555, v36
	v_fma_f32 v9, v15, s7, -v9
	v_fma_f32 v15, v15, s8, -v6
	v_fmac_f32_e32 v6, 0x3d64c772, v8
	v_fma_f32 v8, v10, s6, -v14
	v_mul_f32_e32 v16, 0xbf5ff5aa, v10
	v_add_f32_e32 v9, v9, v11
	v_fmac_f32_e32 v8, 0xbee1c552, v7
	v_fma_f32 v10, v12, s9, -v16
	v_add_f32_e32 v41, v8, v9
	v_sub_f32_e32 v42, v9, v8
	v_add_u32_e32 v8, 0xa00, v52
	v_add_f32_e32 v6, v6, v11
	v_add_f32_e32 v11, v15, v11
	v_fmac_f32_e32 v10, 0xbee1c552, v7
	s_waitcnt lgkmcnt(0)
	s_barrier
	ds_read2_b32 v[18:19], v8 offset0:32 offset1:144
	v_add_u32_e32 v8, 0xc00, v52
	v_fmac_f32_e32 v14, 0xbeae86e6, v12
	v_sub_f32_e32 v40, v11, v10
	v_add_f32_e32 v48, v10, v11
	ds_read2_b32 v[10:11], v8 offset0:128 offset1:240
	v_add_u32_e32 v8, 0x1400, v52
	v_fmac_f32_e32 v14, 0xbee1c552, v7
	ds_read2_b32 v[20:21], v8 offset0:64 offset1:176
	v_add_u32_e32 v8, 0x600, v52
	v_sub_f32_e32 v38, v6, v14
	v_add_f32_e32 v49, v14, v6
	v_add_u32_e32 v6, 0x200, v52
	ds_read2_b32 v[14:15], v8 offset0:64 offset1:176
	v_add_u32_e32 v8, 0x1000, v52
	ds_read2_b32 v[16:17], v52 offset1:112
	ds_read2_b32 v[6:7], v6 offset0:96 offset1:208
	ds_read2_b32 v[8:9], v8 offset0:96 offset1:208
	ds_read_b32 v12, v52 offset:6272
	s_waitcnt lgkmcnt(0)
	s_barrier
	ds_write2_b32 v33, v34, v37 offset1:48
	ds_write2_b32 v33, v43, v45 offset0:96 offset1:144
	ds_write2_b32 v33, v46, v47 offset0:192 offset1:240
	ds_write_b32 v33, v39 offset:1152
	ds_write2_b32 v35, v36, v38 offset1:48
	ds_write2_b32 v35, v40, v41 offset0:96 offset1:144
	ds_write2_b32 v35, v42, v48 offset0:192 offset1:240
	ds_write_b32 v35, v49 offset:1152
	s_and_saveexec_b64 s[2:3], vcc
	s_cbranch_execz .LBB0_49
; %bb.48:
	v_add_f32_e32 v24, v24, v31
	v_add_f32_e32 v13, v25, v13
	;; [unrolled: 1-line block ×3, first 2 shown]
	v_sub_f32_e32 v22, v22, v30
	v_sub_f32_e32 v23, v27, v23
	v_add_f32_e32 v26, v13, v24
	v_sub_f32_e32 v27, v13, v24
	v_sub_f32_e32 v13, v25, v13
	;; [unrolled: 1-line block ×4, first 2 shown]
	v_add_f32_e32 v28, v23, v22
	v_sub_f32_e32 v29, v23, v22
	v_add_f32_e32 v25, v25, v26
	v_mul_f32_e32 v26, 0x3d64c772, v13
	v_sub_f32_e32 v23, v5, v23
	v_sub_f32_e32 v22, v22, v5
	v_add_f32_e32 v5, v28, v5
	v_add_f32_e32 v4, v4, v25
	v_mul_f32_e32 v24, 0x3f4a47b2, v24
	v_mul_f32_e32 v28, 0x3f08b237, v29
	v_fma_f32 v26, v27, s7, -v26
	s_mov_b32 s7, 0xbf3bfb3b
	v_mul_f32_e32 v29, 0xbf5ff5aa, v22
	v_fmamk_f32 v25, v25, 0xbf955555, v4
	v_fma_f32 v27, v27, s7, -v24
	v_fmac_f32_e32 v24, 0x3d64c772, v13
	v_fmamk_f32 v13, v23, 0xbeae86e6, v28
	v_fma_f32 v22, v22, s6, -v28
	s_mov_b32 s6, 0x3eae86e6
	v_fma_f32 v23, v23, s6, -v29
	v_add_f32_e32 v24, v24, v25
	v_fmac_f32_e32 v13, 0xbee1c552, v5
	v_add_f32_e32 v26, v26, v25
	v_add_f32_e32 v25, v27, v25
	v_fmac_f32_e32 v22, 0xbee1c552, v5
	v_fmac_f32_e32 v23, 0xbee1c552, v5
	v_sub_f32_e32 v5, v24, v13
	v_add_f32_e32 v13, v13, v24
	v_add_u32_e32 v24, 0x1400, v32
	v_sub_f32_e32 v27, v25, v23
	v_add_f32_e32 v28, v22, v26
	v_sub_f32_e32 v22, v26, v22
	v_add_f32_e32 v23, v23, v25
	ds_write2_b32 v24, v4, v5 offset0:64 offset1:112
	ds_write2_b32 v24, v27, v28 offset0:160 offset1:208
	v_add_u32_e32 v4, 0x1800, v32
	ds_write2_b32 v4, v22, v23 offset1:48
	ds_write_b32 v32, v13 offset:6528
.LBB0_49:
	s_or_b64 exec, exec, s[2:3]
	s_waitcnt lgkmcnt(0)
	s_barrier
	s_and_saveexec_b64 s[2:3], s[0:1]
	s_cbranch_execz .LBB0_51
; %bb.50:
	v_lshlrev_b32_e32 v4, 2, v53
	v_mov_b32_e32 v5, 0
	v_lshl_add_u64 v[24:25], v[4:5], 3, s[4:5]
	v_lshlrev_b32_e32 v4, 2, v1
	v_lshl_add_u64 v[32:33], v[4:5], 3, s[4:5]
	v_lshlrev_b32_e32 v4, 2, v0
	v_lshl_add_u64 v[22:23], v[4:5], 3, s[4:5]
	global_load_dwordx4 v[34:37], v[22:23], off offset:2672
	global_load_dwordx4 v[38:41], v[22:23], off offset:2688
	v_add_u32_e32 v1, 0x600, v52
	v_add_u32_e32 v13, 0xc00, v52
	ds_read_b32 v22, v52 offset:6272
	v_add_u32_e32 v23, 0x1000, v52
	v_add_u32_e32 v43, 0x200, v52
	;; [unrolled: 1-line block ×4, first 2 shown]
	ds_read2_b32 v[26:27], v52 offset1:112
	ds_read2_b32 v[30:31], v1 offset0:64 offset1:176
	ds_read2_b32 v[28:29], v13 offset0:128 offset1:240
	global_load_dwordx4 v[46:49], v[32:33], off offset:2688
	global_load_dwordx4 v[50:53], v[32:33], off offset:2672
	ds_read2_b32 v[32:33], v23 offset0:96 offset1:208
	ds_read2_b32 v[60:61], v43 offset0:96 offset1:208
	;; [unrolled: 1-line block ×4, first 2 shown]
	v_mov_b32_e32 v1, v5
	v_lshl_add_u64 v[66:67], v[0:1], 3, v[2:3]
	s_waitcnt lgkmcnt(2)
	v_mov_b32_e32 v0, v61
	v_mov_b32_e32 v2, v29
	;; [unrolled: 1-line block ×8, first 2 shown]
	s_mov_b32 s2, 0x3f737871
	s_mov_b32 s4, 0x3f167918
	s_movk_i32 s1, 0x1000
	s_mov_b32 s0, 0x3e9e377a
	v_mov_b32_e32 v26, v17
	v_mov_b32_e32 v7, v60
	s_mov_b64 s[6:7], 0x700
	s_waitcnt vmcnt(3)
	v_pk_mul_f32 v[0:1], v[34:35], v[0:1] op_sel_hi:[1,0]
	s_waitcnt lgkmcnt(1)
	v_pk_mul_f32 v[68:69], v[36:37], v[62:63] op_sel_hi:[1,0]
	s_waitcnt vmcnt(2) lgkmcnt(0)
	v_pk_mul_f32 v[70:71], v[40:41], v[64:65] op_sel_hi:[1,0]
	v_pk_mul_f32 v[2:3], v[38:39], v[2:3] op_sel_hi:[1,0]
	v_pk_fma_f32 v[72:73], v[4:5], v[34:35], v[0:1] op_sel:[0,0,1] op_sel_hi:[1,1,0]
	v_pk_fma_f32 v[0:1], v[42:43], v[34:35], v[0:1] op_sel:[0,0,1] op_sel_hi:[0,1,0] neg_lo:[1,0,0] neg_hi:[1,0,0]
	v_pk_fma_f32 v[34:35], v[18:19], v[36:37], v[68:69] op_sel:[0,0,1] op_sel_hi:[1,1,0]
	v_pk_fma_f32 v[36:37], v[18:19], v[36:37], v[68:69] op_sel:[0,0,1] op_sel_hi:[0,1,0] neg_lo:[1,0,0] neg_hi:[1,0,0]
	;; [unrolled: 2-line block ×4, first 2 shown]
	v_mov_b32_e32 v73, v1
	v_mov_b32_e32 v35, v37
	;; [unrolled: 1-line block ×4, first 2 shown]
	v_pk_add_f32 v[0:1], v[58:59], v[72:73]
	v_pk_add_f32 v[2:3], v[34:35], v[54:55]
	v_pk_add_f32 v[36:37], v[72:73], v[42:43] neg_lo:[0,1] neg_hi:[0,1]
	v_pk_add_f32 v[38:39], v[34:35], v[54:55] neg_lo:[0,1] neg_hi:[0,1]
	;; [unrolled: 1-line block ×4, first 2 shown]
	v_pk_add_f32 v[72:73], v[72:73], v[42:43]
	v_pk_add_f32 v[0:1], v[0:1], v[34:35]
	v_pk_fma_f32 v[2:3], v[2:3], 0.5, v[58:59] op_sel_hi:[1,0,1] neg_lo:[1,0,0] neg_hi:[1,0,0]
	v_pk_mul_f32 v[34:35], v[36:37], s[2:3] op_sel_hi:[1,0]
	v_pk_add_f32 v[56:57], v[42:43], v[54:55] neg_lo:[0,1] neg_hi:[0,1]
	v_pk_add_f32 v[70:71], v[54:55], v[42:43] neg_lo:[0,1] neg_hi:[0,1]
	v_pk_mul_f32 v[74:75], v[38:39], s[4:5] op_sel_hi:[1,0]
	v_pk_fma_f32 v[58:59], v[72:73], 0.5, v[58:59] op_sel_hi:[1,0,1] neg_lo:[1,0,0] neg_hi:[1,0,0]
	v_pk_mul_f32 v[38:39], v[38:39], s[2:3] op_sel_hi:[1,0]
	v_pk_add_f32 v[0:1], v[0:1], v[54:55]
	v_pk_add_f32 v[54:55], v[2:3], v[34:35] op_sel:[0,1] op_sel_hi:[1,0] neg_lo:[0,1] neg_hi:[0,1]
	v_pk_add_f32 v[2:3], v[2:3], v[34:35] op_sel:[0,1] op_sel_hi:[1,0]
	v_pk_mul_f32 v[36:37], v[36:37], s[4:5] op_sel_hi:[1,0]
	v_pk_add_f32 v[34:35], v[58:59], v[38:39] op_sel:[0,1] op_sel_hi:[1,0]
	v_pk_add_f32 v[38:39], v[58:59], v[38:39] op_sel:[0,1] op_sel_hi:[1,0] neg_lo:[0,1] neg_hi:[0,1]
	v_pk_add_f32 v[0:1], v[42:43], v[0:1]
	v_pk_add_f32 v[2:3], v[2:3], v[74:75] op_sel:[0,1] op_sel_hi:[1,0]
	v_pk_add_f32 v[42:43], v[54:55], v[74:75] op_sel:[0,1] op_sel_hi:[1,0] neg_lo:[0,1] neg_hi:[0,1]
	v_pk_add_f32 v[40:41], v[40:41], v[56:57]
	v_pk_add_f32 v[38:39], v[38:39], v[36:37] op_sel:[0,1] op_sel_hi:[1,0]
	v_pk_add_f32 v[34:35], v[34:35], v[36:37] op_sel:[0,1] op_sel_hi:[1,0] neg_lo:[0,1] neg_hi:[0,1]
	global_store_dwordx2 v[66:67], v[0:1], off
	v_mov_b32_e32 v0, v42
	v_mov_b32_e32 v1, v3
	v_pk_add_f32 v[56:57], v[68:69], v[70:71]
	v_mov_b32_e32 v36, v34
	v_mov_b32_e32 v37, v39
	v_pk_fma_f32 v[0:1], v[40:41], s[0:1], v[0:1] op_sel_hi:[1,0,1]
	v_add_co_u32_e32 v54, vcc, s1, v66
	v_mov_b32_e32 v39, v35
	v_pk_fma_f32 v[36:37], v[56:57], s[0:1], v[36:37] op_sel_hi:[1,0,1]
	global_store_dwordx2 v[66:67], v[0:1], off offset:2688
	v_addc_co_u32_e32 v55, vcc, 0, v67, vcc
	v_pk_fma_f32 v[0:1], v[56:57], s[0:1], v[38:39] op_sel_hi:[1,0,1]
	global_store_dwordx2 v[54:55], v[36:37], off offset:1280
	global_store_dwordx2 v[54:55], v[0:1], off offset:3968
	v_mov_b32_e32 v3, v43
	v_pk_fma_f32 v[38:39], v[40:41], s[0:1], v[2:3] op_sel_hi:[1,0,1]
	global_load_dwordx4 v[0:3], v[24:25], off offset:2688
	global_load_dwordx4 v[34:37], v[24:25], off offset:2672
	s_movk_i32 s3, 0x2000
	v_add_co_u32_e32 v24, vcc, s3, v66
	v_mov_b32_e32 v4, v19
	s_nop 0
	v_addc_co_u32_e32 v25, vcc, 0, v67, vcc
	global_store_dwordx2 v[24:25], v[38:39], off offset:2560
	s_waitcnt vmcnt(7)
	v_pk_mul_f32 v[38:39], v[50:51], v[30:31] op_sel_hi:[1,0]
	s_nop 0
	v_pk_fma_f32 v[40:41], v[14:15], v[50:51], v[38:39] op_sel:[0,0,1] op_sel_hi:[1,1,0]
	v_pk_fma_f32 v[38:39], v[14:15], v[50:51], v[38:39] op_sel:[0,0,1] op_sel_hi:[0,1,0] neg_lo:[1,0,0] neg_hi:[1,0,0]
	v_mov_b32_e32 v14, v63
	v_mov_b32_e32 v41, v39
	v_pk_mul_f32 v[38:39], v[52:53], v[14:15] op_sel_hi:[1,0]
	v_mov_b32_e32 v14, v65
	v_pk_fma_f32 v[42:43], v[4:5], v[52:53], v[38:39] op_sel:[0,0,1] op_sel_hi:[1,1,0]
	v_pk_fma_f32 v[18:19], v[4:5], v[52:53], v[38:39] op_sel:[0,0,1] op_sel_hi:[0,1,0] neg_lo:[1,0,0] neg_hi:[1,0,0]
	v_mov_b32_e32 v43, v19
	v_mov_b32_e32 v4, v21
	v_pk_mul_f32 v[18:19], v[48:49], v[14:15] op_sel_hi:[1,0]
	v_pk_add_f32 v[16:17], v[26:27], v[40:41]
	v_pk_fma_f32 v[38:39], v[4:5], v[48:49], v[18:19] op_sel:[0,0,1] op_sel_hi:[1,1,0]
	v_pk_fma_f32 v[18:19], v[4:5], v[48:49], v[18:19] op_sel:[0,0,1] op_sel_hi:[0,1,0] neg_lo:[1,0,0] neg_hi:[1,0,0]
	v_mov_b32_e32 v39, v19
	v_pk_mul_f32 v[18:19], v[46:47], v[32:33] op_sel_hi:[1,0]
	v_pk_add_f32 v[16:17], v[16:17], v[42:43]
	v_pk_fma_f32 v[20:21], v[8:9], v[46:47], v[18:19] op_sel:[0,0,1] op_sel_hi:[1,1,0]
	v_pk_fma_f32 v[18:19], v[8:9], v[46:47], v[18:19] op_sel:[0,0,1] op_sel_hi:[0,1,0] neg_lo:[1,0,0] neg_hi:[1,0,0]
	v_mov_b32_e32 v21, v19
	v_pk_add_f32 v[16:17], v[16:17], v[20:21]
	v_pk_add_f32 v[18:19], v[40:41], v[38:39] neg_lo:[0,1] neg_hi:[0,1]
	v_pk_add_f32 v[16:17], v[38:39], v[16:17]
	global_store_dwordx2 v[66:67], v[16:17], off offset:896
	v_pk_add_f32 v[16:17], v[42:43], v[20:21]
	v_pk_add_f32 v[48:49], v[42:43], v[20:21] neg_lo:[0,1] neg_hi:[0,1]
	v_pk_add_f32 v[56:57], v[38:39], v[20:21] neg_lo:[0,1] neg_hi:[0,1]
	;; [unrolled: 1-line block ×3, first 2 shown]
	v_pk_add_f32 v[38:39], v[40:41], v[38:39]
	v_pk_fma_f32 v[16:17], v[16:17], 0.5, v[26:27] op_sel_hi:[1,0,1] neg_lo:[1,0,0] neg_hi:[1,0,0]
	v_pk_fma_f32 v[26:27], v[38:39], 0.5, v[26:27] op_sel_hi:[1,0,1] neg_lo:[1,0,0] neg_hi:[1,0,0]
	v_pk_mul_f32 v[38:39], v[48:49], s[2:3] op_sel_hi:[1,0]
	v_pk_mul_f32 v[46:47], v[18:19], s[2:3] op_sel_hi:[1,0]
	v_pk_add_f32 v[52:53], v[40:41], v[42:43] neg_lo:[0,1] neg_hi:[0,1]
	v_pk_add_f32 v[42:43], v[42:43], v[40:41] neg_lo:[0,1] neg_hi:[0,1]
	v_pk_mul_f32 v[18:19], v[18:19], s[4:5] op_sel_hi:[1,0]
	v_pk_add_f32 v[40:41], v[26:27], v[38:39] op_sel:[0,1] op_sel_hi:[1,0]
	v_pk_add_f32 v[26:27], v[26:27], v[38:39] op_sel:[0,1] op_sel_hi:[1,0] neg_lo:[0,1] neg_hi:[0,1]
	v_pk_add_f32 v[20:21], v[42:43], v[20:21]
	v_pk_add_f32 v[26:27], v[26:27], v[18:19] op_sel:[0,1] op_sel_hi:[1,0]
	v_pk_add_f32 v[18:19], v[40:41], v[18:19] op_sel:[0,1] op_sel_hi:[1,0] neg_lo:[0,1] neg_hi:[0,1]
	v_mov_b32_e32 v39, v27
	v_mov_b32_e32 v27, v19
	;; [unrolled: 1-line block ×3, first 2 shown]
	v_pk_fma_f32 v[18:19], v[20:21], s[0:1], v[26:27] op_sel_hi:[1,0,1]
	v_mov_b32_e32 v14, v31
	global_store_dwordx2 v[24:25], v[18:19], off offset:768
	v_mov_b32_e32 v8, v15
	v_pk_fma_f32 v[38:39], v[20:21], s[0:1], v[38:39] op_sel_hi:[1,0,1]
	s_mov_b32 s3, 0x18618619
	v_pk_mul_f32 v[50:51], v[48:49], s[4:5] op_sel_hi:[1,0]
	v_pk_add_f32 v[52:53], v[52:53], v[56:57]
	v_pk_add_f32 v[56:57], v[16:17], v[46:47] op_sel:[0,1] op_sel_hi:[1,0] neg_lo:[0,1] neg_hi:[0,1]
	v_pk_add_f32 v[16:17], v[16:17], v[46:47] op_sel:[0,1] op_sel_hi:[1,0]
	v_mul_hi_u32 v4, v44, s3
	v_pk_add_f32 v[16:17], v[16:17], v[50:51] op_sel:[0,1] op_sel_hi:[1,0]
	v_pk_add_f32 v[46:47], v[56:57], v[50:51] op_sel:[0,1] op_sel_hi:[1,0] neg_lo:[0,1] neg_hi:[0,1]
	v_lshrrev_b32_e32 v4, 1, v4
	v_mov_b32_e32 v50, v46
	v_mov_b32_e32 v51, v17
	;; [unrolled: 1-line block ×3, first 2 shown]
	v_mul_u32_u24_e32 v4, 0x540, v4
	v_pk_fma_f32 v[50:51], v[52:53], s[0:1], v[50:51] op_sel_hi:[1,0,1]
	v_pk_fma_f32 v[16:17], v[52:53], s[0:1], v[16:17] op_sel_hi:[1,0,1]
	v_lshl_add_u64 v[4:5], v[4:5], 3, v[66:67]
	global_store_dwordx2 v[66:67], v[50:51], off offset:3584
	global_store_dwordx2 v[54:55], v[38:39], off offset:2176
	;; [unrolled: 1-line block ×3, first 2 shown]
	v_lshl_add_u64 v[16:17], v[4:5], 0, s[6:7]
	s_waitcnt vmcnt(6)
	v_pk_mul_f32 v[18:19], v[34:35], v[14:15] op_sel_hi:[1,0]
	s_nop 0
	v_pk_fma_f32 v[20:21], v[8:9], v[34:35], v[18:19] op_sel:[0,0,1] op_sel_hi:[1,1,0]
	v_pk_fma_f32 v[14:15], v[8:9], v[34:35], v[18:19] op_sel:[0,0,1] op_sel_hi:[0,1,0] neg_lo:[1,0,0] neg_hi:[1,0,0]
	v_mov_b32_e32 v21, v15
	v_pk_mul_f32 v[14:15], v[36:37], v[28:29] op_sel_hi:[1,0]
	v_mov_b32_e32 v8, v33
	v_pk_fma_f32 v[18:19], v[10:11], v[36:37], v[14:15] op_sel:[0,0,1] op_sel_hi:[1,1,0]
	v_pk_fma_f32 v[10:11], v[10:11], v[36:37], v[14:15] op_sel:[0,0,1] op_sel_hi:[0,1,0] neg_lo:[1,0,0] neg_hi:[1,0,0]
	v_mov_b32_e32 v19, v11
	v_pk_mul_f32 v[10:11], v[2:3], v[22:23] op_sel_hi:[1,0]
	v_pk_add_f32 v[24:25], v[20:21], v[18:19] neg_lo:[0,1] neg_hi:[0,1]
	v_pk_fma_f32 v[14:15], v[12:13], v[2:3], v[10:11] op_sel:[0,0,1] op_sel_hi:[1,1,0]
	v_pk_fma_f32 v[2:3], v[12:13], v[2:3], v[10:11] op_sel:[0,0,1] op_sel_hi:[0,1,0] neg_lo:[1,0,0] neg_hi:[1,0,0]
	v_mov_b32_e32 v2, v9
	v_pk_mul_f32 v[10:11], v[0:1], v[8:9] op_sel_hi:[1,0]
	v_mov_b32_e32 v8, v9
	v_mov_b32_e32 v15, v3
	v_pk_fma_f32 v[2:3], v[2:3], v[0:1], v[10:11] op_sel:[0,0,1] op_sel_hi:[1,1,0]
	v_pk_fma_f32 v[0:1], v[8:9], v[0:1], v[10:11] op_sel:[0,0,1] op_sel_hi:[0,1,0] neg_lo:[1,0,0] neg_hi:[1,0,0]
	v_mov_b32_e32 v3, v1
	v_pk_add_f32 v[0:1], v[6:7], v[20:21]
	v_pk_add_f32 v[8:9], v[20:21], v[14:15] neg_lo:[0,1] neg_hi:[0,1]
	v_pk_add_f32 v[0:1], v[0:1], v[18:19]
	v_pk_mul_f32 v[10:11], v[8:9], s[2:3] op_sel_hi:[1,0]
	v_pk_add_f32 v[0:1], v[0:1], v[2:3]
	v_pk_add_f32 v[12:13], v[18:19], v[2:3] neg_lo:[0,1] neg_hi:[0,1]
	v_pk_add_f32 v[0:1], v[14:15], v[0:1]
	global_store_dwordx2 v[4:5], v[0:1], off offset:1792
	v_pk_add_f32 v[0:1], v[18:19], v[2:3]
	v_pk_add_f32 v[26:27], v[14:15], v[2:3] neg_lo:[0,1] neg_hi:[0,1]
	v_pk_fma_f32 v[0:1], v[0:1], 0.5, v[6:7] op_sel_hi:[1,0,1] neg_lo:[1,0,0] neg_hi:[1,0,0]
	v_pk_mul_f32 v[22:23], v[12:13], s[4:5] op_sel_hi:[1,0]
	v_pk_add_f32 v[24:25], v[24:25], v[26:27]
	v_pk_add_f32 v[26:27], v[0:1], v[10:11] op_sel:[0,1] op_sel_hi:[1,0] neg_lo:[0,1] neg_hi:[0,1]
	v_pk_add_f32 v[0:1], v[0:1], v[10:11] op_sel:[0,1] op_sel_hi:[1,0]
	v_pk_add_f32 v[10:11], v[26:27], v[22:23] op_sel:[0,1] op_sel_hi:[1,0] neg_lo:[0,1] neg_hi:[0,1]
	v_pk_add_f32 v[0:1], v[0:1], v[22:23] op_sel:[0,1] op_sel_hi:[1,0]
	v_pk_add_f32 v[2:3], v[2:3], v[14:15] neg_lo:[0,1] neg_hi:[0,1]
	v_pk_add_f32 v[14:15], v[20:21], v[14:15]
	v_mov_b32_e32 v22, v10
	v_mov_b32_e32 v23, v1
	v_pk_fma_f32 v[6:7], v[14:15], 0.5, v[6:7] op_sel_hi:[1,0,1] neg_lo:[1,0,0] neg_hi:[1,0,0]
	v_pk_mul_f32 v[12:13], v[12:13], s[2:3] op_sel_hi:[1,0]
	v_pk_fma_f32 v[22:23], v[24:25], s[0:1], v[22:23] op_sel_hi:[1,0,1]
	v_pk_add_f32 v[14:15], v[6:7], v[12:13] op_sel:[0,1] op_sel_hi:[1,0]
	v_pk_add_f32 v[6:7], v[6:7], v[12:13] op_sel:[0,1] op_sel_hi:[1,0] neg_lo:[0,1] neg_hi:[0,1]
	v_pk_mul_f32 v[8:9], v[8:9], s[4:5] op_sel_hi:[1,0]
	global_store_dwordx2 v[16:17], v[22:23], off offset:2688
	v_pk_add_f32 v[16:17], v[18:19], v[20:21] neg_lo:[0,1] neg_hi:[0,1]
	v_pk_add_f32 v[6:7], v[6:7], v[8:9] op_sel:[0,1] op_sel_hi:[1,0]
	v_pk_add_f32 v[8:9], v[14:15], v[8:9] op_sel:[0,1] op_sel_hi:[1,0] neg_lo:[0,1] neg_hi:[0,1]
	v_add_co_u32_e32 v14, vcc, s1, v4
	v_pk_add_f32 v[2:3], v[16:17], v[2:3]
	v_mov_b32_e32 v12, v8
	v_mov_b32_e32 v13, v7
	v_addc_co_u32_e32 v15, vcc, 0, v5, vcc
	v_mov_b32_e32 v7, v9
	v_pk_fma_f32 v[12:13], v[2:3], s[0:1], v[12:13] op_sel_hi:[1,0,1]
	v_pk_fma_f32 v[2:3], v[2:3], s[0:1], v[6:7] op_sel_hi:[1,0,1]
	v_add_co_u32_e32 v6, vcc, 0x2000, v4
	v_mov_b32_e32 v1, v11
	s_nop 0
	v_addc_co_u32_e32 v7, vcc, 0, v5, vcc
	global_store_dwordx2 v[6:7], v[2:3], off offset:1664
	v_add_co_u32_e32 v2, vcc, 0x3000, v4
	v_pk_fma_f32 v[0:1], v[24:25], s[0:1], v[0:1] op_sel_hi:[1,0,1]
	s_nop 0
	v_addc_co_u32_e32 v3, vcc, 0, v5, vcc
	global_store_dwordx2 v[14:15], v[12:13], off offset:3072
	global_store_dwordx2 v[2:3], v[0:1], off offset:256
.LBB0_51:
	s_endpgm
	.section	.rodata,"a",@progbits
	.p2align	6, 0x0
	.amdhsa_kernel fft_rtc_back_len1680_factors_2_2_2_2_3_7_5_wgs_112_tpt_112_halfLds_sp_ip_CI_unitstride_sbrr_dirReg
		.amdhsa_group_segment_fixed_size 0
		.amdhsa_private_segment_fixed_size 0
		.amdhsa_kernarg_size 88
		.amdhsa_user_sgpr_count 2
		.amdhsa_user_sgpr_dispatch_ptr 0
		.amdhsa_user_sgpr_queue_ptr 0
		.amdhsa_user_sgpr_kernarg_segment_ptr 1
		.amdhsa_user_sgpr_dispatch_id 0
		.amdhsa_user_sgpr_kernarg_preload_length 0
		.amdhsa_user_sgpr_kernarg_preload_offset 0
		.amdhsa_user_sgpr_private_segment_size 0
		.amdhsa_uses_dynamic_stack 0
		.amdhsa_enable_private_segment 0
		.amdhsa_system_sgpr_workgroup_id_x 1
		.amdhsa_system_sgpr_workgroup_id_y 0
		.amdhsa_system_sgpr_workgroup_id_z 0
		.amdhsa_system_sgpr_workgroup_info 0
		.amdhsa_system_vgpr_workitem_id 0
		.amdhsa_next_free_vgpr 80
		.amdhsa_next_free_sgpr 22
		.amdhsa_accum_offset 80
		.amdhsa_reserve_vcc 1
		.amdhsa_float_round_mode_32 0
		.amdhsa_float_round_mode_16_64 0
		.amdhsa_float_denorm_mode_32 3
		.amdhsa_float_denorm_mode_16_64 3
		.amdhsa_dx10_clamp 1
		.amdhsa_ieee_mode 1
		.amdhsa_fp16_overflow 0
		.amdhsa_tg_split 0
		.amdhsa_exception_fp_ieee_invalid_op 0
		.amdhsa_exception_fp_denorm_src 0
		.amdhsa_exception_fp_ieee_div_zero 0
		.amdhsa_exception_fp_ieee_overflow 0
		.amdhsa_exception_fp_ieee_underflow 0
		.amdhsa_exception_fp_ieee_inexact 0
		.amdhsa_exception_int_div_zero 0
	.end_amdhsa_kernel
	.text
.Lfunc_end0:
	.size	fft_rtc_back_len1680_factors_2_2_2_2_3_7_5_wgs_112_tpt_112_halfLds_sp_ip_CI_unitstride_sbrr_dirReg, .Lfunc_end0-fft_rtc_back_len1680_factors_2_2_2_2_3_7_5_wgs_112_tpt_112_halfLds_sp_ip_CI_unitstride_sbrr_dirReg
                                        ; -- End function
	.section	.AMDGPU.csdata,"",@progbits
; Kernel info:
; codeLenInByte = 10488
; NumSgprs: 28
; NumVgprs: 80
; NumAgprs: 0
; TotalNumVgprs: 80
; ScratchSize: 0
; MemoryBound: 0
; FloatMode: 240
; IeeeMode: 1
; LDSByteSize: 0 bytes/workgroup (compile time only)
; SGPRBlocks: 3
; VGPRBlocks: 9
; NumSGPRsForWavesPerEU: 28
; NumVGPRsForWavesPerEU: 80
; AccumOffset: 80
; Occupancy: 6
; WaveLimiterHint : 1
; COMPUTE_PGM_RSRC2:SCRATCH_EN: 0
; COMPUTE_PGM_RSRC2:USER_SGPR: 2
; COMPUTE_PGM_RSRC2:TRAP_HANDLER: 0
; COMPUTE_PGM_RSRC2:TGID_X_EN: 1
; COMPUTE_PGM_RSRC2:TGID_Y_EN: 0
; COMPUTE_PGM_RSRC2:TGID_Z_EN: 0
; COMPUTE_PGM_RSRC2:TIDIG_COMP_CNT: 0
; COMPUTE_PGM_RSRC3_GFX90A:ACCUM_OFFSET: 19
; COMPUTE_PGM_RSRC3_GFX90A:TG_SPLIT: 0
	.text
	.p2alignl 6, 3212836864
	.fill 256, 4, 3212836864
	.type	__hip_cuid_dc548ef829b15fad,@object ; @__hip_cuid_dc548ef829b15fad
	.section	.bss,"aw",@nobits
	.globl	__hip_cuid_dc548ef829b15fad
__hip_cuid_dc548ef829b15fad:
	.byte	0                               ; 0x0
	.size	__hip_cuid_dc548ef829b15fad, 1

	.ident	"AMD clang version 19.0.0git (https://github.com/RadeonOpenCompute/llvm-project roc-6.4.0 25133 c7fe45cf4b819c5991fe208aaa96edf142730f1d)"
	.section	".note.GNU-stack","",@progbits
	.addrsig
	.addrsig_sym __hip_cuid_dc548ef829b15fad
	.amdgpu_metadata
---
amdhsa.kernels:
  - .agpr_count:     0
    .args:
      - .actual_access:  read_only
        .address_space:  global
        .offset:         0
        .size:           8
        .value_kind:     global_buffer
      - .offset:         8
        .size:           8
        .value_kind:     by_value
      - .actual_access:  read_only
        .address_space:  global
        .offset:         16
        .size:           8
        .value_kind:     global_buffer
      - .actual_access:  read_only
        .address_space:  global
        .offset:         24
        .size:           8
        .value_kind:     global_buffer
      - .offset:         32
        .size:           8
        .value_kind:     by_value
      - .actual_access:  read_only
        .address_space:  global
        .offset:         40
        .size:           8
        .value_kind:     global_buffer
      - .actual_access:  read_only
        .address_space:  global
        .offset:         48
        .size:           8
        .value_kind:     global_buffer
      - .offset:         56
        .size:           4
        .value_kind:     by_value
      - .actual_access:  read_only
        .address_space:  global
        .offset:         64
        .size:           8
        .value_kind:     global_buffer
      - .actual_access:  read_only
        .address_space:  global
        .offset:         72
        .size:           8
        .value_kind:     global_buffer
      - .address_space:  global
        .offset:         80
        .size:           8
        .value_kind:     global_buffer
    .group_segment_fixed_size: 0
    .kernarg_segment_align: 8
    .kernarg_segment_size: 88
    .language:       OpenCL C
    .language_version:
      - 2
      - 0
    .max_flat_workgroup_size: 112
    .name:           fft_rtc_back_len1680_factors_2_2_2_2_3_7_5_wgs_112_tpt_112_halfLds_sp_ip_CI_unitstride_sbrr_dirReg
    .private_segment_fixed_size: 0
    .sgpr_count:     28
    .sgpr_spill_count: 0
    .symbol:         fft_rtc_back_len1680_factors_2_2_2_2_3_7_5_wgs_112_tpt_112_halfLds_sp_ip_CI_unitstride_sbrr_dirReg.kd
    .uniform_work_group_size: 1
    .uses_dynamic_stack: false
    .vgpr_count:     80
    .vgpr_spill_count: 0
    .wavefront_size: 64
amdhsa.target:   amdgcn-amd-amdhsa--gfx950
amdhsa.version:
  - 1
  - 2
...

	.end_amdgpu_metadata
